;; amdgpu-corpus repo=ROCm/rocFFT kind=compiled arch=gfx1201 opt=O3
	.text
	.amdgcn_target "amdgcn-amd-amdhsa--gfx1201"
	.amdhsa_code_object_version 6
	.protected	bluestein_single_fwd_len1053_dim1_sp_op_CI_CI ; -- Begin function bluestein_single_fwd_len1053_dim1_sp_op_CI_CI
	.globl	bluestein_single_fwd_len1053_dim1_sp_op_CI_CI
	.p2align	8
	.type	bluestein_single_fwd_len1053_dim1_sp_op_CI_CI,@function
bluestein_single_fwd_len1053_dim1_sp_op_CI_CI: ; @bluestein_single_fwd_len1053_dim1_sp_op_CI_CI
; %bb.0:
	s_load_b128 s[8:11], s[0:1], 0x28
	v_mul_u32_u24_e32 v1, 0x231, v0
	s_mov_b32 s2, exec_lo
	v_mov_b32_e32 v69, 0
	s_delay_alu instid0(VALU_DEP_2) | instskip(NEXT) | instid1(VALU_DEP_1)
	v_lshrrev_b32_e32 v1, 16, v1
	v_add_nc_u32_e32 v68, ttmp9, v1
	s_wait_kmcnt 0x0
	s_delay_alu instid0(VALU_DEP_1)
	v_cmpx_gt_u64_e64 s[8:9], v[68:69]
	s_cbranch_execz .LBB0_10
; %bb.1:
	s_load_b128 s[4:7], s[0:1], 0x18
	v_mul_lo_u16 v1, 0x75, v1
                                        ; implicit-def: $vgpr56
                                        ; implicit-def: $vgpr62
	s_delay_alu instid0(VALU_DEP_1) | instskip(NEXT) | instid1(VALU_DEP_1)
	v_sub_nc_u16 v0, v0, v1
	v_and_b32_e32 v91, 0xffff, v0
	s_wait_kmcnt 0x0
	s_load_b128 s[12:15], s[4:5], 0x0
	s_wait_kmcnt 0x0
	v_mad_co_u64_u32 v[1:2], null, s14, v68, 0
	v_mad_co_u64_u32 v[3:4], null, s12, v91, 0
	s_mul_u64 s[2:3], s[12:13], 0xaf8
	s_mul_i32 s4, s13, 0xffffedb8
	s_delay_alu instid0(SALU_CYCLE_1) | instskip(NEXT) | instid1(VALU_DEP_1)
	s_sub_co_i32 s4, s4, s12
	v_mad_co_u64_u32 v[5:6], null, s15, v68, v[2:3]
	s_delay_alu instid0(VALU_DEP_1) | instskip(NEXT) | instid1(VALU_DEP_3)
	v_mov_b32_e32 v2, v5
	v_mad_co_u64_u32 v[6:7], null, s13, v91, v[4:5]
	v_add_co_u32 v99, null, 0x75, v91
	s_delay_alu instid0(VALU_DEP_3) | instskip(SKIP_1) | instid1(VALU_DEP_3)
	v_lshlrev_b64_e32 v[1:2], 3, v[1:2]
	v_add_co_u32 v67, null, 0xea, v91
	v_mul_u32_u24_e32 v28, 3, v99
	v_mov_b32_e32 v4, v6
	s_delay_alu instid0(VALU_DEP_4) | instskip(SKIP_2) | instid1(VALU_DEP_3)
	v_add_co_u32 v1, vcc_lo, s10, v1
	v_add_co_ci_u32_e32 v2, vcc_lo, s11, v2, vcc_lo
	s_load_b128 s[8:11], s[0:1], 0x0
	v_lshlrev_b64_e32 v[3:4], 3, v[3:4]
	s_load_b64 s[0:1], s[0:1], 0x38
	v_lshlrev_b32_e32 v66, 3, v28
	s_delay_alu instid0(VALU_DEP_2) | instskip(SKIP_1) | instid1(VALU_DEP_3)
	v_add_co_u32 v1, vcc_lo, v1, v3
	s_wait_alu 0xfffd
	v_add_co_ci_u32_e32 v2, vcc_lo, v2, v4, vcc_lo
	s_delay_alu instid0(VALU_DEP_2)
	v_add_co_u32 v3, vcc_lo, v1, s2
	global_load_b64 v[11:12], v[1:2], off
	v_lshlrev_b32_e32 v92, 3, v91
	s_wait_alu 0xfffd
	v_add_co_ci_u32_e32 v4, vcc_lo, s3, v2, vcc_lo
	v_add_co_u32 v5, vcc_lo, v3, s2
	s_wait_kmcnt 0x0
	s_clause 0x1
	global_load_b64 v[85:86], v92, s[8:9]
	global_load_b64 v[79:80], v92, s[8:9] offset:2808
	s_wait_alu 0xfffd
	v_add_co_ci_u32_e32 v6, vcc_lo, s3, v4, vcc_lo
	global_load_b64 v[3:4], v[3:4], off
	global_load_b64 v[81:82], v92, s[8:9] offset:5616
	v_and_b32_e32 v23, 0xff, v99
	v_mad_co_u64_u32 v[7:8], null, 0xffffedb8, s12, v[5:6]
	s_delay_alu instid0(VALU_DEP_2) | instskip(NEXT) | instid1(VALU_DEP_2)
	v_mul_lo_u16 v23, 0xab, v23
	v_add_nc_u32_e32 v8, s4, v8
	s_delay_alu instid0(VALU_DEP_3) | instskip(NEXT) | instid1(VALU_DEP_3)
	v_add_co_u32 v9, vcc_lo, v7, s2
	v_lshrrev_b16 v29, 9, v23
	s_wait_alu 0xfffd
	s_delay_alu instid0(VALU_DEP_3) | instskip(NEXT) | instid1(VALU_DEP_3)
	v_add_co_ci_u32_e32 v10, vcc_lo, s3, v8, vcc_lo
	v_add_co_u32 v1, vcc_lo, v9, s2
	s_delay_alu instid0(VALU_DEP_3) | instskip(SKIP_1) | instid1(VALU_DEP_3)
	v_mul_lo_u16 v32, v29, 3
	s_wait_alu 0xfffd
	v_add_co_ci_u32_e32 v2, vcc_lo, s3, v10, vcc_lo
	global_load_b64 v[5:6], v[5:6], off
	global_load_b64 v[83:84], v92, s[8:9] offset:936
	global_load_b64 v[7:8], v[7:8], off
	s_clause 0x2
	global_load_b64 v[73:74], v92, s[8:9] offset:3744
	global_load_b64 v[71:72], v92, s[8:9] offset:6552
	global_load_b64 v[69:70], v92, s[8:9] offset:1872
	global_load_b64 v[9:10], v[9:10], off
	v_and_b32_e32 v98, 0xffff, v67
	v_mad_co_u64_u32 v[13:14], null, 0xffffedb8, s12, v[1:2]
	global_load_b64 v[15:16], v[1:2], off
	v_add_nc_u32_e32 v14, s4, v14
	v_add_co_u32 v1, vcc_lo, v13, s2
	s_wait_loadcnt 0x9
	v_mul_f32_e32 v23, v4, v80
	s_wait_alu 0xfffd
	v_add_co_ci_u32_e32 v2, vcc_lo, s3, v14, vcc_lo
	global_load_b64 v[13:14], v[13:14], off
	v_add_co_u32 v17, vcc_lo, v1, s2
	s_wait_alu 0xfffd
	v_add_co_ci_u32_e32 v18, vcc_lo, s3, v2, vcc_lo
	global_load_b64 v[75:76], v92, s[8:9] offset:4680
	global_load_b64 v[19:20], v[1:2], off
	global_load_b64 v[77:78], v92, s[8:9] offset:7488
	global_load_b64 v[17:18], v[17:18], off
	v_dual_fmac_f32 v23, v3, v79 :: v_dual_and_b32 v2, 0xff, v0
	v_mul_lo_u16 v1, v0, 3
	s_load_b128 s[4:7], s[6:7], 0x0
	v_cmp_gt_u16_e32 vcc_lo, 0x51, v0
	s_delay_alu instid0(VALU_DEP_3) | instskip(SKIP_2) | instid1(VALU_DEP_2)
	v_mul_lo_u16 v22, 0xab, v2
	s_wait_loadcnt 0xc
	v_dual_mul_f32 v34, v5, v82 :: v_dual_and_b32 v21, 0xffff, v1
	v_lshrrev_b16 v27, 9, v22
	v_mul_u32_u24_e32 v22, 0xaaab, v98
	s_delay_alu instid0(VALU_DEP_3) | instskip(SKIP_2) | instid1(VALU_DEP_4)
	v_dual_mul_f32 v21, v12, v86 :: v_dual_lshlrev_b32 v64, 3, v21
	v_add_nc_u32_e32 v1, 0xc00, v92
	v_add_nc_u32_e32 v2, 0x1800, v92
	v_lshrrev_b32_e32 v31, 17, v22
	v_dual_mul_f32 v22, v11, v86 :: v_dual_add_nc_u32 v25, 0x400, v92
	v_fmac_f32_e32 v21, v11, v85
	s_wait_loadcnt 0xa
	v_mul_f32_e32 v11, v8, v84
	v_mul_lo_u16 v30, v27, 3
	v_fma_f32 v22, v12, v85, -v22
	v_dual_mul_f32 v12, v3, v80 :: v_dual_mul_f32 v3, v6, v82
	s_delay_alu instid0(VALU_DEP_4) | instskip(SKIP_1) | instid1(VALU_DEP_3)
	v_dual_fmac_f32 v11, v7, v83 :: v_dual_add_nc_u32 v26, 0x1400, v92
	v_mul_lo_u16 v33, v31, 3
	v_fma_f32 v24, v4, v79, -v12
	s_delay_alu instid0(VALU_DEP_4)
	v_dual_fmac_f32 v3, v5, v81 :: v_dual_mul_f32 v12, v7, v84
	s_wait_loadcnt 0x6
	v_mul_f32_e32 v5, v10, v74
	v_fma_f32 v4, v6, v81, -v34
	s_wait_loadcnt 0x5
	v_dual_mul_f32 v6, v9, v74 :: v_dual_mul_f32 v7, v16, v72
	v_fma_f32 v12, v8, v83, -v12
	v_dual_mul_f32 v8, v15, v72 :: v_dual_fmac_f32 v5, v9, v73
	s_delay_alu instid0(VALU_DEP_3) | instskip(NEXT) | instid1(VALU_DEP_4)
	v_fma_f32 v6, v10, v73, -v6
	v_fmac_f32_e32 v7, v15, v71
	v_add_co_u32 v60, s2, s8, v92
	s_delay_alu instid0(VALU_DEP_4)
	v_fma_f32 v8, v16, v71, -v8
	s_wait_alu 0xf1ff
	v_add_co_ci_u32_e64 v61, null, s9, 0, s2
	s_wait_loadcnt 0x4
	v_mul_f32_e32 v10, v13, v70
	s_wait_loadcnt 0x2
	v_dual_mul_f32 v9, v14, v70 :: v_dual_mul_f32 v16, v19, v76
	s_wait_loadcnt 0x0
	v_mul_f32_e32 v15, v18, v78
	s_delay_alu instid0(VALU_DEP_2) | instskip(SKIP_4) | instid1(VALU_DEP_4)
	v_fmac_f32_e32 v9, v13, v69
	v_dual_mul_f32 v13, v20, v76 :: v_dual_mul_f32 v34, v17, v78
	v_fma_f32 v10, v14, v69, -v10
	v_fma_f32 v14, v20, v75, -v16
	v_mul_u32_u24_e32 v20, 3, v67
	v_fmac_f32_e32 v13, v19, v75
	v_sub_nc_u16 v19, v0, v30
	v_fmac_f32_e32 v15, v17, v77
	v_fma_f32 v16, v18, v77, -v34
	s_delay_alu instid0(VALU_DEP_3)
	v_and_b32_e32 v30, 0xff, v19
	ds_store_b64 v92, v[23:24] offset:2808
	ds_store_b64 v92, v[3:4] offset:5616
	ds_store_2addr_b64 v92, v[21:22], v[11:12] offset1:117
	ds_store_b64 v92, v[9:10] offset:1872
	ds_store_2addr_b64 v1, v[5:6], v[13:14] offset0:84 offset1:201
	ds_store_2addr_b64 v2, v[7:8], v[15:16] offset0:51 offset1:168
	global_wb scope:SCOPE_SE
	s_wait_dscnt 0x0
	s_wait_kmcnt 0x0
	s_barrier_signal -1
	s_barrier_wait -1
	global_inv scope:SCOPE_SE
	ds_load_2addr_b64 v[3:6], v92 offset1:117
	ds_load_2addr_b64 v[7:10], v25 offset0:106 offset1:223
	ds_load_2addr_b64 v[11:14], v26 offset0:62 offset1:179
	;; [unrolled: 1-line block ×3, first 2 shown]
	v_lshlrev_b32_e32 v65, 3, v20
	ds_load_b64 v[19:20], v92 offset:7488
	v_sub_nc_u16 v21, v99, v32
	v_sub_nc_u16 v22, v67, v33
	v_lshlrev_b32_e32 v23, 4, v30
	global_wb scope:SCOPE_SE
	s_wait_dscnt 0x0
	s_barrier_signal -1
	v_and_b32_e32 v28, 0xff, v21
	v_lshlrev_b16 v21, 1, v22
	s_barrier_wait -1
	global_inv scope:SCOPE_SE
	v_lshlrev_b32_e32 v24, 4, v28
	v_and_b32_e32 v21, 0xffff, v21
	v_add_f32_e32 v32, v3, v9
	v_dual_add_f32 v36, v10, v12 :: v_dual_add_f32 v33, v9, v11
	v_sub_f32_e32 v40, v16, v14
	v_dual_add_f32 v35, v4, v10 :: v_dual_add_f32 v38, v5, v15
	v_sub_f32_e32 v37, v9, v11
	v_dual_add_f32 v39, v15, v13 :: v_dual_sub_f32 v44, v18, v20
	v_dual_add_f32 v41, v6, v16 :: v_dual_sub_f32 v42, v15, v13
	v_dual_add_f32 v16, v16, v14 :: v_dual_add_f32 v15, v7, v17
	v_add_f32_e32 v43, v17, v19
	v_dual_add_f32 v45, v8, v18 :: v_dual_sub_f32 v46, v17, v19
	v_add_f32_e32 v18, v18, v20
	v_sub_f32_e32 v34, v10, v12
	v_fma_f32 v3, -0.5, v33, v3
	v_fma_f32 v4, -0.5, v36, v4
	v_add_f32_e32 v9, v32, v11
	v_dual_add_f32 v11, v38, v13 :: v_dual_fmac_f32 v6, -0.5, v16
	v_fma_f32 v5, -0.5, v39, v5
	v_add_f32_e32 v10, v35, v12
	v_fma_f32 v7, -0.5, v43, v7
	v_dual_fmac_f32 v8, -0.5, v18 :: v_dual_add_f32 v13, v15, v19
	v_fmamk_f32 v15, v34, 0x3f5db3d7, v3
	v_dual_fmac_f32 v3, 0xbf5db3d7, v34 :: v_dual_fmamk_f32 v16, v37, 0xbf5db3d7, v4
	v_dual_fmac_f32 v4, 0x3f5db3d7, v37 :: v_dual_fmamk_f32 v17, v40, 0x3f5db3d7, v5
	v_dual_add_f32 v12, v41, v14 :: v_dual_fmac_f32 v5, 0xbf5db3d7, v40
	v_fmamk_f32 v18, v42, 0xbf5db3d7, v6
	v_dual_fmac_f32 v6, 0x3f5db3d7, v42 :: v_dual_fmamk_f32 v19, v44, 0x3f5db3d7, v7
	v_add_f32_e32 v14, v45, v20
	v_dual_fmac_f32 v7, 0xbf5db3d7, v44 :: v_dual_fmamk_f32 v20, v46, 0xbf5db3d7, v8
	v_fmac_f32_e32 v8, 0x3f5db3d7, v46
	ds_store_2addr_b64 v64, v[9:10], v[15:16] offset1:1
	ds_store_b64 v64, v[3:4] offset:16
	ds_store_2addr_b64 v66, v[11:12], v[17:18] offset1:1
	ds_store_b64 v66, v[5:6] offset:16
	;; [unrolled: 2-line block ×3, first 2 shown]
	v_lshlrev_b32_e32 v3, 3, v21
	global_wb scope:SCOPE_SE
	s_wait_dscnt 0x0
	s_barrier_signal -1
	s_barrier_wait -1
	global_inv scope:SCOPE_SE
	s_clause 0x2
	global_load_b128 v[16:19], v23, s[10:11]
	global_load_b128 v[12:15], v24, s[10:11]
	;; [unrolled: 1-line block ×3, first 2 shown]
	ds_load_2addr_b64 v[3:6], v26 offset0:62 offset1:179
	ds_load_2addr_b64 v[40:43], v25 offset0:106 offset1:223
	v_mad_u16 v24, v31, 9, v22
	v_and_b32_e32 v7, 0xffff, v29
	ds_load_2addr_b64 v[20:23], v1 offset0:84 offset1:201
	v_and_b32_e32 v0, 0xffff, v27
	ds_load_2addr_b64 v[44:47], v92 offset1:117
	v_and_b32_e32 v26, 0xffff, v24
	ds_load_b64 v[24:25], v92 offset:7488
	global_wb scope:SCOPE_SE
	s_wait_loadcnt_dscnt 0x0
	s_barrier_signal -1
	s_barrier_wait -1
	global_inv scope:SCOPE_SE
	v_mul_f32_e32 v27, v3, v19
	v_dual_mul_f32 v26, v4, v19 :: v_dual_lshlrev_b32 v95, 3, v26
	v_mul_u32_u24_e32 v7, 9, v7
	v_mul_f32_e32 v29, v20, v13
	v_dual_mul_f32 v31, v5, v15 :: v_dual_mul_f32 v32, v23, v9
	s_delay_alu instid0(VALU_DEP_4) | instskip(NEXT) | instid1(VALU_DEP_4)
	v_fma_f32 v3, v3, v18, -v26
	v_add_lshl_u32 v96, v7, v28, 3
	v_mul_f32_e32 v7, v42, v17
	v_mul_u32_u24_e32 v0, 9, v0
	v_dual_mul_f32 v28, v21, v13 :: v_dual_mul_f32 v35, v24, v11
	v_dual_mul_f32 v33, v22, v9 :: v_dual_mul_f32 v34, v25, v11
	s_delay_alu instid0(VALU_DEP_3) | instskip(SKIP_2) | instid1(VALU_DEP_2)
	v_add_lshl_u32 v97, v0, v30, 3
	v_mul_f32_e32 v0, v43, v17
	v_mul_f32_e32 v30, v6, v15
	v_fma_f32 v0, v42, v16, -v0
	v_fmac_f32_e32 v7, v43, v16
	s_delay_alu instid0(VALU_DEP_3)
	v_fma_f32 v5, v5, v14, -v30
	v_fmac_f32_e32 v31, v6, v14
	v_fma_f32 v6, v22, v8, -v32
	v_add_f32_e32 v22, v0, v3
	v_fmac_f32_e32 v27, v4, v18
	v_fma_f32 v4, v20, v12, -v28
	v_fmac_f32_e32 v29, v21, v12
	v_fma_f32 v20, v24, v10, -v34
	v_add_f32_e32 v21, v44, v0
	v_dual_sub_f32 v0, v0, v3 :: v_dual_fmac_f32 v35, v25, v10
	s_delay_alu instid0(VALU_DEP_4)
	v_add_f32_e32 v30, v47, v29
	v_dual_add_f32 v26, v4, v5 :: v_dual_fmac_f32 v33, v23, v8
	v_sub_f32_e32 v28, v29, v31
	v_add_f32_e32 v24, v45, v7
	v_sub_f32_e32 v23, v7, v27
	v_dual_add_f32 v7, v7, v27 :: v_dual_add_f32 v32, v40, v6
	v_dual_add_f32 v25, v46, v4 :: v_dual_add_f32 v38, v41, v33
	;; [unrolled: 1-line block ×3, first 2 shown]
	v_sub_f32_e32 v42, v33, v35
	v_dual_add_f32 v33, v33, v35 :: v_dual_sub_f32 v6, v6, v20
	v_sub_f32_e32 v4, v4, v5
	s_delay_alu instid0(VALU_DEP_4)
	v_dual_add_f32 v36, v21, v3 :: v_dual_fmac_f32 v47, -0.5, v29
	v_fma_f32 v48, -0.5, v22, v44
	v_fma_f32 v49, -0.5, v7, v45
	;; [unrolled: 1-line block ×4, first 2 shown]
	v_fmac_f32_e32 v41, -0.5, v33
	v_dual_add_f32 v37, v24, v27 :: v_dual_add_f32 v50, v25, v5
	v_dual_add_f32 v51, v30, v31 :: v_dual_add_f32 v52, v32, v20
	v_dual_add_f32 v53, v38, v35 :: v_dual_fmamk_f32 v38, v23, 0x3f5db3d7, v48
	v_dual_fmac_f32 v48, 0xbf5db3d7, v23 :: v_dual_fmamk_f32 v39, v0, 0xbf5db3d7, v49
	v_dual_fmac_f32 v49, 0x3f5db3d7, v0 :: v_dual_fmamk_f32 v44, v28, 0x3f5db3d7, v46
	;; [unrolled: 1-line block ×5, first 2 shown]
	v_fmac_f32_e32 v41, 0x3f5db3d7, v6
	ds_store_2addr_b64 v97, v[36:37], v[38:39] offset1:3
	ds_store_b64 v97, v[48:49] offset:48
	ds_store_2addr_b64 v96, v[50:51], v[44:45] offset1:3
	ds_store_b64 v96, v[46:47] offset:48
	;; [unrolled: 2-line block ×3, first 2 shown]
	global_wb scope:SCOPE_SE
	s_wait_dscnt 0x0
	s_barrier_signal -1
	s_barrier_wait -1
	global_inv scope:SCOPE_SE
	s_and_saveexec_b32 s2, vcc_lo
	s_cbranch_execz .LBB0_3
; %bb.2:
	v_add_nc_u32_e32 v0, 0x800, v92
	v_add_nc_u32_e32 v3, 0x1000, v92
	ds_load_2addr_b64 v[36:39], v92 offset1:81
	ds_load_2addr_b64 v[48:51], v92 offset0:162 offset1:243
	ds_load_2addr_b64 v[52:55], v1 offset0:102 offset1:183
	;; [unrolled: 1-line block ×5, first 2 shown]
	ds_load_b64 v[62:63], v92 offset:7776
.LBB0_3:
	s_wait_alu 0xfffe
	s_or_b32 exec_lo, exec_lo, s2
	v_and_b32_e32 v0, 0xff, v91
	s_delay_alu instid0(VALU_DEP_1) | instskip(NEXT) | instid1(VALU_DEP_1)
	v_mul_lo_u16 v0, v0, 57
	v_lshrrev_b16 v94, 9, v0
	s_delay_alu instid0(VALU_DEP_1) | instskip(SKIP_1) | instid1(VALU_DEP_2)
	v_mul_lo_u16 v0, v94, 9
	v_and_b32_e32 v94, 0xffff, v94
	v_sub_nc_u16 v0, v91, v0
	s_delay_alu instid0(VALU_DEP_1) | instskip(NEXT) | instid1(VALU_DEP_1)
	v_and_b32_e32 v93, 0xff, v0
	v_mad_co_u64_u32 v[32:33], null, 0x60, v93, s[10:11]
	s_clause 0x5
	global_load_b128 v[24:27], v[32:33], off offset:48
	global_load_b128 v[20:23], v[32:33], off offset:64
	;; [unrolled: 1-line block ×6, first 2 shown]
	global_wb scope:SCOPE_SE
	s_wait_loadcnt_dscnt 0x0
	s_barrier_signal -1
	s_barrier_wait -1
	global_inv scope:SCOPE_SE
	v_dual_mul_f32 v88, v49, v27 :: v_dual_mul_f32 v89, v51, v21
	v_dual_mul_f32 v90, v45, v23 :: v_dual_mul_f32 v87, v39, v25
	;; [unrolled: 1-line block ×7, first 2 shown]
	s_delay_alu instid0(VALU_DEP_4)
	v_dual_mul_f32 v123, v63, v35 :: v_dual_fmac_f32 v108, v45, v22
	v_fma_f32 v113, v50, v20, -v89
	v_fma_f32 v112, v44, v22, -v90
	;; [unrolled: 1-line block ×3, first 2 shown]
	v_mul_f32_e32 v122, v59, v33
	v_dual_mul_f32 v111, v38, v25 :: v_dual_mul_f32 v110, v48, v27
	v_dual_mul_f32 v116, v47, v5 :: v_dual_mul_f32 v117, v53, v7
	;; [unrolled: 1-line block ×3, first 2 shown]
	s_delay_alu instid0(VALU_DEP_3)
	v_dual_mul_f32 v100, v62, v35 :: v_dual_fmac_f32 v111, v39, v24
	v_fma_f32 v115, v38, v24, -v87
	v_fma_f32 v114, v48, v26, -v88
	v_dual_fmac_f32 v107, v47, v4 :: v_dual_fmac_f32 v104, v41, v2
	v_fmac_f32_e32 v103, v43, v28
	v_fma_f32 v41, v62, v34, -v123
	v_add_f32_e32 v45, v113, v44
	v_fma_f32 v43, v58, v32, -v122
	v_dual_mul_f32 v101, v58, v33 :: v_dual_fmac_f32 v110, v49, v26
	v_dual_fmac_f32 v109, v51, v20 :: v_dual_fmac_f32 v106, v53, v6
	v_fma_f32 v50, v52, v6, -v117
	v_fma_f32 v49, v54, v0, -v118
	v_dual_fmac_f32 v105, v55, v0 :: v_dual_fmac_f32 v102, v57, v30
	v_fma_f32 v48, v40, v2, -v119
	v_sub_f32_e32 v132, v115, v41
	v_add_f32_e32 v40, v114, v43
	v_dual_fmac_f32 v100, v63, v34 :: v_dual_add_f32 v53, v108, v103
	v_dual_fmac_f32 v101, v59, v32 :: v_dual_sub_f32 v134, v114, v43
	v_sub_f32_e32 v133, v109, v102
	s_delay_alu instid0(VALU_DEP_3) | instskip(SKIP_4) | instid1(VALU_DEP_4)
	v_add_f32_e32 v39, v111, v100
	v_dual_sub_f32 v141, v107, v104 :: v_dual_add_f32 v62, v50, v49
	v_mul_f32_e32 v149, 0xbf52af12, v132
	v_fma_f32 v51, v46, v4, -v116
	v_fma_f32 v46, v42, v28, -v120
	v_mul_f32_e32 v152, 0xbf52af12, v141
	v_add_f32_e32 v42, v110, v101
	v_fma_f32 v182, 0x3f116cb1, v39, -v149
	v_mul_f32_e32 v131, 0xbeedf032, v132
	v_dual_sub_f32 v127, v111, v100 :: v_dual_sub_f32 v130, v110, v101
	v_dual_sub_f32 v140, v113, v44 :: v_dual_sub_f32 v145, v112, v46
	s_delay_alu instid0(VALU_DEP_2)
	v_dual_sub_f32 v148, v106, v105 :: v_dual_mul_f32 v121, 0xbeedf032, v127
	v_dual_mul_f32 v126, 0xbf52af12, v134 :: v_dual_mul_f32 v137, 0xbf52af12, v127
	v_add_f32_e32 v182, v37, v182
	v_fma_f32 v57, 0x3f62ad3f, v39, -v131
	v_dual_add_f32 v38, v115, v41 :: v_dual_add_f32 v47, v109, v102
	v_dual_mul_f32 v125, 0xbf7e222b, v140 :: v_dual_mul_f32 v172, 0xbf7e222b, v145
	s_delay_alu instid0(VALU_DEP_3) | instskip(SKIP_3) | instid1(VALU_DEP_3)
	v_dual_mul_f32 v116, 0xbe750f2a, v148 :: v_dual_add_f32 v57, v37, v57
	v_fma_f32 v59, 0x3f116cb1, v42, -v126
	v_dual_sub_f32 v139, v108, v103 :: v_dual_add_f32 v54, v51, v48
	v_dual_sub_f32 v150, v51, v48 :: v_dual_sub_f32 v159, v50, v49
	v_dual_mul_f32 v136, 0xbf6f5d39, v130 :: v_dual_add_f32 v57, v59, v57
	v_fma_f32 v88, 0x3df6dbef, v47, -v125
	v_mul_f32_e32 v146, 0xbf6f5d39, v134
	v_dual_add_f32 v52, v112, v46 :: v_dual_add_f32 v55, v107, v104
	v_dual_mul_f32 v118, 0xbf6f5d39, v139 :: v_dual_mul_f32 v175, 0xbf6f5d39, v132
	v_dual_mul_f32 v122, 0xbe750f2a, v159 :: v_dual_mul_f32 v147, 0xbe750f2a, v140
	;; [unrolled: 1-line block ×3, first 2 shown]
	v_add_f32_e32 v57, v88, v57
	v_fma_f32 v183, 0xbeb58ec6, v42, -v146
	v_dual_add_f32 v63, v106, v105 :: v_dual_mul_f32 v120, 0xbf52af12, v130
	v_mul_f32_e32 v124, 0xbf6f5d39, v145
	v_dual_mul_f32 v135, 0x3f29c268, v139 :: v_dual_mul_f32 v174, 0x3f29c268, v134
	v_fma_f32 v185, 0xbf788fa5, v47, -v147
	v_fma_f32 v201, 0x3f62ad3f, v53, -v160
	v_fmamk_f32 v195, v52, 0x3f62ad3f, v153
	v_fmamk_f32 v56, v38, 0x3f62ad3f, v121
	v_fma_f32 v206, 0xbeb58ec6, v39, -v175
	v_add_f32_e32 v59, v183, v182
	v_mul_f32_e32 v144, 0x3f7e222b, v150
	s_delay_alu instid0(VALU_DEP_4)
	v_dual_mul_f32 v119, 0xbf7e222b, v133 :: v_dual_add_f32 v56, v36, v56
	v_dual_mul_f32 v129, 0x3eedf032, v148 :: v_dual_mul_f32 v142, 0x3eedf032, v159
	v_dual_mul_f32 v151, 0xbf29c268, v148 :: v_dual_add_f32 v206, v37, v206
	v_fma_f32 v207, 0xbf3f9e67, v42, -v174
	v_add_f32_e32 v59, v185, v59
	v_fma_f32 v189, 0x3df6dbef, v55, -v144
	v_fmamk_f32 v58, v40, 0x3f116cb1, v120
	s_delay_alu instid0(VALU_DEP_4) | instskip(SKIP_3) | instid1(VALU_DEP_4)
	v_dual_mul_f32 v128, 0x3f7e222b, v141 :: v_dual_add_f32 v183, v207, v206
	v_mul_f32_e32 v155, 0xbf29c268, v159
	v_fmamk_f32 v87, v45, 0x3df6dbef, v119
	v_fma_f32 v191, 0x3f62ad3f, v63, -v142
	v_fmamk_f32 v188, v54, 0x3df6dbef, v128
	v_fmamk_f32 v180, v38, 0x3f116cb1, v137
	v_dual_add_f32 v56, v58, v56 :: v_dual_mul_f32 v117, 0xbf29c268, v141
	v_dual_mul_f32 v154, 0x3f6f5d39, v133 :: v_dual_mul_f32 v161, 0x3f6f5d39, v140
	s_delay_alu instid0(VALU_DEP_2) | instskip(SKIP_2) | instid1(VALU_DEP_4)
	v_dual_fmamk_f32 v89, v52, 0xbeb58ec6, v118 :: v_dual_add_f32 v56, v87, v56
	v_fmamk_f32 v181, v40, 0xbeb58ec6, v136
	v_add_f32_e32 v180, v36, v180
	v_fma_f32 v200, 0xbeb58ec6, v47, -v161
	v_mul_f32_e32 v171, 0x3eedf032, v140
	v_dual_add_f32 v56, v89, v56 :: v_dual_mul_f32 v167, 0x3f29c268, v130
	s_delay_alu instid0(VALU_DEP_4) | instskip(SKIP_1) | instid1(VALU_DEP_4)
	v_add_f32_e32 v58, v181, v180
	v_mul_f32_e32 v163, 0xbf7e222b, v132
	v_fma_f32 v209, 0x3f62ad3f, v47, -v171
	v_mul_f32_e32 v162, 0xbe750f2a, v134
	v_fma_f32 v90, 0xbeb58ec6, v53, -v124
	v_fma_f32 v211, 0x3df6dbef, v53, -v172
	v_fma_f32 v198, 0x3df6dbef, v39, -v163
	v_mul_f32_e32 v143, 0x3f29c268, v145
	v_fma_f32 v199, 0xbf788fa5, v42, -v162
	v_dual_mul_f32 v158, 0xbf52af12, v150 :: v_dual_add_f32 v57, v90, v57
	s_delay_alu instid0(VALU_DEP_4) | instskip(SKIP_3) | instid1(VALU_DEP_4)
	v_add_f32_e32 v198, v37, v198
	v_mul_f32_e32 v138, 0xbe750f2a, v133
	v_dual_mul_f32 v166, 0x3e750f2a, v141 :: v_dual_mul_f32 v173, 0x3e750f2a, v150
	v_fma_f32 v187, 0xbf3f9e67, v53, -v143
	v_dual_add_f32 v181, v199, v198 :: v_dual_mul_f32 v164, 0x3f52af12, v148
	v_fma_f32 v202, 0x3f116cb1, v55, -v158
	v_fma_f32 v179, 0xbf788fa5, v63, -v122
	s_delay_alu instid0(VALU_DEP_3)
	v_dual_add_f32 v59, v187, v59 :: v_dual_add_f32 v88, v200, v181
	v_add_f32_e32 v181, v209, v183
	v_fmamk_f32 v205, v40, 0xbf3f9e67, v167
	v_fma_f32 v203, 0xbf3f9e67, v63, -v155
	v_fma_f32 v213, 0xbf788fa5, v55, -v173
	v_add_f32_e32 v88, v201, v88
	v_dual_add_f32 v90, v211, v181 :: v_dual_mul_f32 v165, 0xbf7e222b, v139
	v_fmamk_f32 v214, v62, 0x3f116cb1, v164
	v_fmamk_f32 v194, v45, 0xbeb58ec6, v154
	v_mul_f32_e32 v156, 0xbe750f2a, v130
	v_add_f32_e32 v88, v202, v88
	v_fmamk_f32 v210, v52, 0x3df6dbef, v165
	v_mul_f32_e32 v168, 0xbf6f5d39, v127
	v_fmamk_f32 v178, v62, 0xbf788fa5, v116
	v_fmamk_f32 v186, v52, 0xbf3f9e67, v135
	;; [unrolled: 1-line block ×5, first 2 shown]
	v_mul_f32_e32 v157, 0xbf7e222b, v127
	v_dual_fmamk_f32 v190, v62, 0x3f62ad3f, v129 :: v_dual_add_f32 v59, v189, v59
	s_delay_alu instid0(VALU_DEP_3) | instskip(NEXT) | instid1(VALU_DEP_3)
	v_add_f32_e32 v204, v36, v204
	v_fmamk_f32 v192, v38, 0x3df6dbef, v157
	v_mul_f32_e32 v123, 0xbf29c268, v150
	s_delay_alu instid0(VALU_DEP_3) | instskip(NEXT) | instid1(VALU_DEP_3)
	v_dual_add_f32 v59, v191, v59 :: v_dual_add_f32 v182, v205, v204
	v_add_f32_e32 v192, v36, v192
	s_delay_alu instid0(VALU_DEP_3) | instskip(NEXT) | instid1(VALU_DEP_1)
	v_fma_f32 v177, 0xbf3f9e67, v55, -v123
	v_dual_mul_f32 v170, 0x3f52af12, v159 :: v_dual_add_f32 v57, v177, v57
	v_add_f32_e32 v177, v213, v90
	s_delay_alu instid0(VALU_DEP_2) | instskip(NEXT) | instid1(VALU_DEP_3)
	v_fma_f32 v215, 0x3f116cb1, v63, -v170
	v_add_f32_e32 v90, v179, v57
	v_add_f32_e32 v57, v203, v88
	v_fmamk_f32 v193, v40, 0xbf788fa5, v156
	v_mul_f32_e32 v169, 0x3eedf032, v133
	v_add_f32_e32 v88, v215, v177
	s_delay_alu instid0(VALU_DEP_3) | instskip(NEXT) | instid1(VALU_DEP_3)
	v_add_f32_e32 v180, v193, v192
	v_fmamk_f32 v208, v45, 0x3f62ad3f, v169
	v_fmamk_f32 v197, v62, 0xbf3f9e67, v151
	s_delay_alu instid0(VALU_DEP_2) | instskip(NEXT) | instid1(VALU_DEP_1)
	v_dual_add_f32 v87, v194, v180 :: v_dual_add_f32 v180, v208, v182
	v_dual_add_f32 v87, v195, v87 :: v_dual_fmamk_f32 v176, v54, 0xbf3f9e67, v117
	s_delay_alu instid0(VALU_DEP_2) | instskip(NEXT) | instid1(VALU_DEP_2)
	v_add_f32_e32 v89, v210, v180
	v_add_f32_e32 v87, v196, v87
	s_delay_alu instid0(VALU_DEP_3) | instskip(SKIP_1) | instid1(VALU_DEP_2)
	v_add_f32_e32 v56, v176, v56
	v_fmamk_f32 v184, v45, 0xbf788fa5, v138
	v_dual_add_f32 v176, v212, v89 :: v_dual_add_f32 v89, v178, v56
	s_delay_alu instid0(VALU_DEP_2) | instskip(NEXT) | instid1(VALU_DEP_2)
	v_add_f32_e32 v58, v184, v58
	v_dual_add_f32 v56, v197, v87 :: v_dual_add_f32 v87, v214, v176
	s_delay_alu instid0(VALU_DEP_2) | instskip(NEXT) | instid1(VALU_DEP_1)
	v_add_f32_e32 v58, v186, v58
	v_add_f32_e32 v58, v188, v58
	s_delay_alu instid0(VALU_DEP_1)
	v_add_f32_e32 v58, v190, v58
	s_and_saveexec_b32 s2, vcc_lo
	s_cbranch_execz .LBB0_5
; %bb.4:
	v_mul_f32_e32 v228, 0xbe750f2a, v127
	v_mul_f32_e32 v232, 0x3eedf032, v130
	;; [unrolled: 1-line block ×4, first 2 shown]
	v_dual_mul_f32 v238, 0xbf29c268, v132 :: v_dual_mul_f32 v127, 0xbf29c268, v127
	v_fma_f32 v231, 0xbf788fa5, v38, -v228
	v_mul_f32_e32 v216, 0xbe750f2a, v132
	v_fma_f32 v234, 0x3f62ad3f, v40, -v232
	v_dual_mul_f32 v236, 0x3f7e222b, v159 :: v_dual_mul_f32 v239, 0x3f7e222b, v148
	s_delay_alu instid0(VALU_DEP_3) | instskip(SKIP_2) | instid1(VALU_DEP_3)
	v_dual_add_f32 v231, v36, v231 :: v_dual_fmamk_f32 v176, v39, 0xbf788fa5, v216
	v_mul_f32_e32 v241, 0xbf52af12, v140
	v_dual_mul_f32 v184, 0xbeb58ec6, v38 :: v_dual_mul_f32 v185, 0xbeb58ec6, v39
	v_add_f32_e32 v231, v234, v231
	s_delay_alu instid0(VALU_DEP_4)
	v_dual_mul_f32 v221, 0x3eedf032, v134 :: v_dual_add_f32 v176, v37, v176
	v_fma_f32 v234, 0xbf3f9e67, v45, -v235
	v_mul_f32_e32 v225, 0xbf29c268, v140
	v_mul_f32_e32 v159, 0xbf6f5d39, v159
	v_fma_f32 v140, 0x3df6dbef, v62, -v239
	v_mul_f32_e32 v134, 0x3f7e222b, v134
	v_add_f32_e32 v132, v234, v231
	v_fma_f32 v231, 0x3f116cb1, v52, -v237
	v_fmamk_f32 v177, v42, 0x3f62ad3f, v221
	v_mul_f32_e32 v224, 0xbf3f9e67, v62
	v_mul_f32_e32 v234, 0xbf6f5d39, v141
	v_dual_mul_f32 v182, 0x3df6dbef, v38 :: v_dual_mul_f32 v183, 0x3df6dbef, v39
	v_dual_add_f32 v132, v231, v132 :: v_dual_mul_f32 v227, 0x3f116cb1, v62
	v_dual_add_f32 v176, v177, v176 :: v_dual_fmamk_f32 v177, v47, 0xbf3f9e67, v225
	v_mul_f32_e32 v229, 0x3f52af12, v145
	v_mul_f32_e32 v230, 0x3f116cb1, v63
	v_fma_f32 v231, 0xbeb58ec6, v54, -v234
	v_dual_mul_f32 v192, 0xbf3f9e67, v40 :: v_dual_mul_f32 v193, 0xbf3f9e67, v42
	v_add_f32_e32 v176, v177, v176
	v_fmamk_f32 v177, v53, 0x3f116cb1, v229
	s_delay_alu instid0(VALU_DEP_4) | instskip(SKIP_2) | instid1(VALU_DEP_3)
	v_dual_mul_f32 v233, 0xbf6f5d39, v150 :: v_dual_add_f32 v132, v231, v132
	v_fmamk_f32 v240, v42, 0x3df6dbef, v134
	v_dual_add_f32 v174, v174, v193 :: v_dual_add_f32 v163, v163, v183
	v_dual_add_f32 v176, v177, v176 :: v_dual_fmamk_f32 v177, v55, 0xbeb58ec6, v233
	v_mul_f32_e32 v130, 0x3f7e222b, v130
	v_dual_mul_f32 v200, 0x3f62ad3f, v45 :: v_dual_mul_f32 v201, 0x3f62ad3f, v47
	v_dual_mul_f32 v150, 0x3eedf032, v150 :: v_dual_mul_f32 v141, 0x3eedf032, v141
	s_delay_alu instid0(VALU_DEP_4) | instskip(SKIP_3) | instid1(VALU_DEP_4)
	v_dual_add_f32 v176, v177, v176 :: v_dual_fmamk_f32 v177, v63, 0x3df6dbef, v236
	v_mul_f32_e32 v226, 0xbf3f9e67, v63
	v_dual_mul_f32 v242, 0xbf52af12, v133 :: v_dual_sub_f32 v167, v192, v167
	v_dual_mul_f32 v190, 0xbf788fa5, v40 :: v_dual_mul_f32 v191, 0xbf788fa5, v42
	v_dual_add_f32 v177, v177, v176 :: v_dual_fmamk_f32 v176, v39, 0xbf3f9e67, v238
	v_dual_mul_f32 v198, 0xbeb58ec6, v45 :: v_dual_mul_f32 v199, 0xbeb58ec6, v47
	s_delay_alu instid0(VALU_DEP_3) | instskip(SKIP_1) | instid1(VALU_DEP_4)
	v_add_f32_e32 v162, v162, v191
	v_dual_mul_f32 v196, 0xbf788fa5, v45 :: v_dual_mul_f32 v197, 0xbf788fa5, v47
	v_add_f32_e32 v176, v37, v176
	v_dual_mul_f32 v206, 0x3f62ad3f, v52 :: v_dual_mul_f32 v207, 0x3f62ad3f, v53
	v_dual_mul_f32 v208, 0x3df6dbef, v52 :: v_dual_mul_f32 v209, 0x3df6dbef, v53
	s_delay_alu instid0(VALU_DEP_3)
	v_dual_add_f32 v231, v240, v176 :: v_dual_fmamk_f32 v240, v47, 0x3f116cb1, v241
	v_add_f32_e32 v176, v140, v132
	v_fma_f32 v132, 0xbf3f9e67, v38, -v127
	v_mul_f32_e32 v145, 0x3e750f2a, v145
	v_dual_mul_f32 v148, 0xbf6f5d39, v148 :: v_dual_sub_f32 v157, v182, v157
	v_add_f32_e32 v140, v240, v231
	s_delay_alu instid0(VALU_DEP_4) | instskip(SKIP_3) | instid1(VALU_DEP_3)
	v_add_f32_e32 v132, v36, v132
	v_fma_f32 v240, 0x3df6dbef, v40, -v130
	v_fmamk_f32 v231, v53, 0xbf788fa5, v145
	v_dual_mul_f32 v180, 0x3f116cb1, v38 :: v_dual_mul_f32 v181, 0x3f116cb1, v39
	v_dual_add_f32 v163, v37, v163 :: v_dual_add_f32 v132, v240, v132
	v_dual_mul_f32 v240, 0x3e750f2a, v139 :: v_dual_add_f32 v139, v175, v185
	s_delay_alu instid0(VALU_DEP_4) | instskip(SKIP_1) | instid1(VALU_DEP_4)
	v_add_f32_e32 v133, v231, v140
	v_fma_f32 v231, 0x3f116cb1, v45, -v242
	v_dual_add_f32 v162, v162, v163 :: v_dual_add_f32 v147, v147, v197
	s_delay_alu instid0(VALU_DEP_4) | instskip(SKIP_3) | instid1(VALU_DEP_4)
	v_add_f32_e32 v139, v37, v139
	v_add_f32_e32 v161, v161, v199
	v_dual_mul_f32 v217, 0xbf788fa5, v54 :: v_dual_mul_f32 v218, 0xbf788fa5, v55
	v_dual_add_f32 v132, v231, v132 :: v_dual_sub_f32 v165, v208, v165
	v_dual_add_f32 v139, v174, v139 :: v_dual_fmamk_f32 v140, v55, 0x3f62ad3f, v150
	v_dual_add_f32 v157, v36, v157 :: v_dual_sub_f32 v156, v190, v156
	v_sub_f32_e32 v137, v180, v137
	v_add_f32_e32 v161, v161, v162
	s_delay_alu instid0(VALU_DEP_4) | instskip(SKIP_3) | instid1(VALU_DEP_4)
	v_dual_add_f32 v133, v140, v133 :: v_dual_fmamk_f32 v140, v63, 0xbeb58ec6, v159
	v_add_f32_e32 v160, v160, v207
	v_add_f32_e32 v156, v156, v157
	v_dual_mul_f32 v204, 0xbf3f9e67, v52 :: v_dual_mul_f32 v205, 0xbf3f9e67, v53
	v_add_f32_e32 v133, v140, v133
	v_sub_f32_e32 v140, v184, v168
	v_add_f32_e32 v168, v171, v201
	v_fma_f32 v171, 0x3f62ad3f, v54, -v141
	v_dual_add_f32 v157, v160, v161 :: v_dual_sub_f32 v166, v217, v166
	s_delay_alu instid0(VALU_DEP_4) | instskip(SKIP_2) | instid1(VALU_DEP_3)
	v_dual_sub_f32 v153, v206, v153 :: v_dual_add_f32 v140, v36, v140
	v_dual_sub_f32 v154, v198, v154 :: v_dual_add_f32 v143, v143, v205
	v_dual_mul_f32 v188, 0xbeb58ec6, v40 :: v_dual_mul_f32 v189, 0xbeb58ec6, v42
	v_dual_add_f32 v140, v167, v140 :: v_dual_sub_f32 v167, v200, v169
	v_fma_f32 v175, 0xbf788fa5, v52, -v240
	s_delay_alu instid0(VALU_DEP_4) | instskip(SKIP_1) | instid1(VALU_DEP_4)
	v_dual_add_f32 v149, v149, v181 :: v_dual_add_f32 v154, v154, v156
	v_dual_mul_f32 v178, 0x3f62ad3f, v38 :: v_dual_mul_f32 v179, 0x3f62ad3f, v39
	v_dual_add_f32 v140, v167, v140 :: v_dual_add_f32 v167, v170, v230
	v_add_f32_e32 v139, v168, v139
	v_add_f32_e32 v168, v172, v209
	v_dual_mul_f32 v214, 0x3f116cb1, v54 :: v_dual_mul_f32 v215, 0x3f116cb1, v55
	s_delay_alu instid0(VALU_DEP_4) | instskip(SKIP_1) | instid1(VALU_DEP_4)
	v_add_f32_e32 v165, v165, v140
	v_add_f32_e32 v149, v37, v149
	v_dual_add_f32 v139, v168, v139 :: v_dual_add_f32 v168, v173, v218
	v_add_f32_e32 v132, v175, v132
	v_dual_add_f32 v146, v146, v189 :: v_dual_sub_f32 v151, v224, v151
	v_dual_mul_f32 v186, 0x3f116cb1, v40 :: v_dual_mul_f32 v187, 0x3f116cb1, v42
	s_delay_alu instid0(VALU_DEP_3) | instskip(SKIP_2) | instid1(VALU_DEP_3)
	v_dual_add_f32 v139, v168, v139 :: v_dual_add_f32 v132, v171, v132
	v_fma_f32 v171, 0xbeb58ec6, v62, -v148
	v_dual_mul_f32 v212, 0x3df6dbef, v54 :: v_dual_mul_f32 v213, 0x3df6dbef, v55
	v_dual_add_f32 v140, v167, v139 :: v_dual_add_f32 v139, v166, v165
	s_delay_alu instid0(VALU_DEP_3) | instskip(SKIP_3) | instid1(VALU_DEP_3)
	v_add_f32_e32 v132, v171, v132
	v_add_f32_e32 v146, v146, v149
	v_dual_sub_f32 v152, v214, v152 :: v_dual_add_f32 v131, v131, v179
	v_dual_mul_f32 v194, 0x3df6dbef, v45 :: v_dual_mul_f32 v195, 0x3df6dbef, v47
	v_dual_add_f32 v146, v147, v146 :: v_dual_sub_f32 v135, v204, v135
	s_delay_alu instid0(VALU_DEP_3) | instskip(SKIP_2) | instid1(VALU_DEP_4)
	v_dual_add_f32 v144, v144, v213 :: v_dual_add_f32 v131, v37, v131
	v_add_f32_e32 v126, v126, v187
	v_dual_mul_f32 v222, 0x3f62ad3f, v62 :: v_dual_mul_f32 v223, 0x3f62ad3f, v63
	v_dual_add_f32 v158, v158, v215 :: v_dual_add_f32 v143, v143, v146
	v_add_f32_e32 v149, v153, v154
	v_dual_sub_f32 v138, v196, v138 :: v_dual_add_f32 v125, v125, v195
	v_add_f32_e32 v126, v126, v131
	s_delay_alu instid0(VALU_DEP_3) | instskip(SKIP_2) | instid1(VALU_DEP_4)
	v_dual_sub_f32 v162, v227, v164 :: v_dual_add_f32 v147, v152, v149
	v_add_f32_e32 v149, v36, v137
	v_dual_add_f32 v156, v158, v157 :: v_dual_add_f32 v143, v144, v143
	v_dual_add_f32 v142, v142, v223 :: v_dual_add_f32 v125, v125, v126
	v_sub_f32_e32 v136, v188, v136
	v_add_f32_e32 v144, v37, v111
	v_add_f32_e32 v115, v36, v115
	s_delay_alu instid0(VALU_DEP_4)
	v_dual_add_f32 v111, v142, v143 :: v_dual_mul_f32 v202, 0xbeb58ec6, v52
	v_mul_f32_e32 v203, 0xbeb58ec6, v53
	v_add_f32_e32 v146, v136, v149
	v_add_f32_e32 v110, v144, v110
	;; [unrolled: 1-line block ×3, first 2 shown]
	v_dual_mul_f32 v210, 0xbf3f9e67, v54 :: v_dual_mul_f32 v211, 0xbf3f9e67, v55
	s_delay_alu instid0(VALU_DEP_4) | instskip(NEXT) | instid1(VALU_DEP_4)
	v_add_f32_e32 v138, v138, v146
	v_dual_add_f32 v109, v110, v109 :: v_dual_add_f32 v110, v115, v114
	v_dual_sub_f32 v128, v212, v128 :: v_dual_mul_f32 v219, 0xbf788fa5, v62
	s_delay_alu instid0(VALU_DEP_3) | instskip(NEXT) | instid1(VALU_DEP_3)
	v_dual_mul_f32 v220, 0xbf788fa5, v63 :: v_dual_add_f32 v135, v135, v138
	v_dual_add_f32 v108, v109, v108 :: v_dual_add_f32 v109, v110, v113
	v_add_f32_e32 v113, v124, v203
	s_delay_alu instid0(VALU_DEP_3) | instskip(NEXT) | instid1(VALU_DEP_3)
	v_dual_sub_f32 v115, v222, v129 :: v_dual_add_f32 v114, v128, v135
	v_dual_add_f32 v107, v108, v107 :: v_dual_add_f32 v108, v109, v112
	s_delay_alu instid0(VALU_DEP_3) | instskip(SKIP_1) | instid1(VALU_DEP_3)
	v_dual_add_f32 v109, v113, v125 :: v_dual_add_f32 v112, v123, v211
	v_fmac_f32_e32 v228, 0xbf788fa5, v38
	v_dual_add_f32 v106, v107, v106 :: v_dual_add_f32 v51, v108, v51
	s_delay_alu instid0(VALU_DEP_3) | instskip(SKIP_1) | instid1(VALU_DEP_3)
	v_dual_sub_f32 v107, v186, v120 :: v_dual_add_f32 v108, v112, v109
	v_dual_add_f32 v109, v122, v220 :: v_dual_add_f32 v110, v115, v114
	v_dual_sub_f32 v114, v178, v121 :: v_dual_add_f32 v51, v51, v50
	s_delay_alu instid0(VALU_DEP_4) | instskip(SKIP_2) | instid1(VALU_DEP_4)
	v_add_f32_e32 v105, v106, v105
	v_fmac_f32_e32 v127, 0xbf3f9e67, v38
	v_fmac_f32_e32 v235, 0xbf3f9e67, v45
	v_add_f32_e32 v113, v36, v114
	s_delay_alu instid0(VALU_DEP_4) | instskip(SKIP_2) | instid1(VALU_DEP_4)
	v_dual_add_f32 v49, v51, v49 :: v_dual_add_f32 v104, v105, v104
	v_fma_f32 v51, 0xbf788fa5, v39, -v216
	v_fma_f32 v39, 0xbf3f9e67, v39, -v238
	v_dual_add_f32 v106, v107, v113 :: v_dual_sub_f32 v107, v194, v119
	s_delay_alu instid0(VALU_DEP_4)
	v_add_f32_e32 v103, v104, v103
	v_fmac_f32_e32 v237, 0x3f116cb1, v52
	v_fmac_f32_e32 v240, 0xbf788fa5, v52
	;; [unrolled: 1-line block ×3, first 2 shown]
	v_dual_add_f32 v105, v107, v106 :: v_dual_add_f32 v50, v109, v108
	v_add_f32_e32 v102, v103, v102
	v_sub_f32_e32 v103, v219, v116
	v_add_f32_e32 v48, v49, v48
	v_dual_sub_f32 v106, v202, v118 :: v_dual_add_f32 v49, v37, v51
	v_fma_f32 v51, 0x3f62ad3f, v42, -v221
	s_delay_alu instid0(VALU_DEP_3) | instskip(NEXT) | instid1(VALU_DEP_3)
	v_dual_add_f32 v37, v37, v39 :: v_dual_add_f32 v46, v48, v46
	v_add_f32_e32 v104, v106, v105
	v_sub_f32_e32 v105, v210, v117
	v_fma_f32 v39, 0x3df6dbef, v42, -v134
	v_fmac_f32_e32 v232, 0x3f62ad3f, v40
	v_add_f32_e32 v46, v46, v44
	v_add_f32_e32 v48, v51, v49
	v_fma_f32 v49, 0xbf3f9e67, v47, -v225
	v_add_f32_e32 v51, v105, v104
	v_add_f32_e32 v101, v102, v101
	;; [unrolled: 1-line block ×3, first 2 shown]
	v_fma_f32 v102, 0x3f116cb1, v53, -v229
	v_dual_add_f32 v48, v49, v48 :: v_dual_add_f32 v37, v39, v37
	v_fma_f32 v39, 0x3f116cb1, v47, -v241
	v_add_f32_e32 v49, v103, v51
	v_add_f32_e32 v51, v36, v228
	s_delay_alu instid0(VALU_DEP_4) | instskip(NEXT) | instid1(VALU_DEP_4)
	v_add_f32_e32 v46, v102, v48
	v_dual_add_f32 v36, v36, v127 :: v_dual_add_f32 v37, v39, v37
	v_fma_f32 v39, 0xbf788fa5, v53, -v145
	v_fmac_f32_e32 v130, 0x3df6dbef, v40
	v_fma_f32 v48, 0xbeb58ec6, v55, -v233
	v_add_f32_e32 v38, v232, v51
	s_delay_alu instid0(VALU_DEP_4) | instskip(SKIP_4) | instid1(VALU_DEP_4)
	v_dual_add_f32 v44, v101, v100 :: v_dual_add_f32 v37, v39, v37
	v_fma_f32 v39, 0x3f62ad3f, v55, -v150
	v_add_f32_e32 v36, v130, v36
	v_dual_fmac_f32 v234, 0xbeb58ec6, v54 :: v_dual_add_f32 v43, v43, v41
	v_add_f32_e32 v41, v48, v46
	v_add_f32_e32 v39, v39, v37
	v_fmac_f32_e32 v242, 0x3f116cb1, v45
	v_fma_f32 v45, 0xbeb58ec6, v63, -v159
	v_fma_f32 v40, 0x3df6dbef, v63, -v236
	v_add_f32_e32 v38, v235, v38
	v_fmac_f32_e32 v239, 0x3df6dbef, v62
	v_mul_u32_u24_e32 v42, 0x75, v94
	v_add_f32_e32 v39, v45, v39
	v_dual_add_f32 v37, v40, v41 :: v_dual_add_f32 v36, v242, v36
	v_add_f32_e32 v38, v237, v38
	v_add_f32_e32 v153, v155, v226
	v_fmac_f32_e32 v148, 0xbeb58ec6, v62
	v_add_lshl_u32 v42, v42, v93, 3
	v_add_f32_e32 v36, v240, v36
	s_delay_alu instid0(VALU_DEP_4) | instskip(NEXT) | instid1(VALU_DEP_2)
	v_dual_add_f32 v38, v234, v38 :: v_dual_add_f32 v137, v153, v156
	v_dual_add_f32 v139, v162, v139 :: v_dual_add_f32 v46, v141, v36
	s_delay_alu instid0(VALU_DEP_2) | instskip(NEXT) | instid1(VALU_DEP_2)
	v_add_f32_e32 v36, v239, v38
	v_add_f32_e32 v38, v148, v46
	ds_store_2addr_b64 v42, v[43:44], v[49:50] offset1:9
	ds_store_2addr_b64 v42, v[110:111], v[136:137] offset0:18 offset1:27
	ds_store_2addr_b64 v42, v[139:140], v[132:133] offset0:36 offset1:45
	ds_store_2addr_b64 v42, v[176:177], v[36:37] offset0:54 offset1:63
	ds_store_2addr_b64 v42, v[38:39], v[87:88] offset0:72 offset1:81
	ds_store_2addr_b64 v42, v[56:57], v[58:59] offset0:90 offset1:99
	ds_store_b64 v42, v[89:90] offset:864
.LBB0_5:
	s_wait_alu 0xfffe
	s_or_b32 exec_lo, exec_lo, s2
	v_mul_u32_u24_e32 v40, 0x8c09, v98
	v_lshlrev_b32_e32 v63, 4, v91
	global_wb scope:SCOPE_SE
	s_wait_dscnt 0x0
	s_barrier_signal -1
	s_barrier_wait -1
	v_lshrrev_b32_e32 v40, 22, v40
	global_inv scope:SCOPE_SE
	global_load_b128 v[36:39], v63, s[10:11] offset:912
	v_mul_lo_u16 v40, 0x75, v40
	s_delay_alu instid0(VALU_DEP_1) | instskip(NEXT) | instid1(VALU_DEP_1)
	v_sub_nc_u16 v98, v67, v40
	v_lshlrev_b16 v40, 4, v98
	s_delay_alu instid0(VALU_DEP_1) | instskip(NEXT) | instid1(VALU_DEP_1)
	v_and_b32_e32 v40, 0xffff, v40
	v_add_co_u32 v40, s2, s10, v40
	s_wait_alu 0xf1ff
	v_add_co_ci_u32_e64 v41, null, s11, 0, s2
	s_add_nc_u64 s[2:3], s[8:9], 0x20e8
	global_load_b128 v[40:43], v[40:41], off offset:912
	v_add_nc_u32_e32 v62, 0x400, v92
	v_add_nc_u32_e32 v101, 0x1400, v92
	;; [unrolled: 1-line block ×3, first 2 shown]
	ds_load_2addr_b64 v[44:47], v62 offset0:106 offset1:223
	ds_load_2addr_b64 v[48:51], v101 offset0:62 offset1:179
	;; [unrolled: 1-line block ×3, first 2 shown]
	ds_load_2addr_b64 v[102:105], v92 offset1:117
	ds_load_b64 v[106:107], v92 offset:7488
	v_and_b32_e32 v98, 0xffff, v98
	v_lshlrev_b32_e32 v99, 4, v99
	global_wb scope:SCOPE_SE
	s_wait_loadcnt_dscnt 0x0
	s_barrier_signal -1
	s_barrier_wait -1
	global_inv scope:SCOPE_SE
	v_mul_f32_e32 v114, v52, v37
	v_mul_f32_e32 v109, v47, v37
	v_dual_mul_f32 v110, v46, v37 :: v_dual_mul_f32 v111, v49, v39
	v_mul_f32_e32 v113, v53, v37
	v_mul_f32_e32 v115, v51, v39
	;; [unrolled: 1-line block ×3, first 2 shown]
	v_fma_f32 v46, v46, v36, -v109
	v_fmac_f32_e32 v110, v47, v36
	v_fma_f32 v47, v48, v38, -v111
	v_fma_f32 v48, v52, v36, -v113
	v_mul_f32_e32 v116, v50, v39
	v_fma_f32 v50, v50, v38, -v115
	v_fmac_f32_e32 v114, v53, v36
	s_delay_alu instid0(VALU_DEP_4) | instskip(NEXT) | instid1(VALU_DEP_4)
	v_dual_add_f32 v111, v104, v48 :: v_dual_lshlrev_b32 v98, 3, v98
	v_fmac_f32_e32 v116, v51, v38
	s_delay_alu instid0(VALU_DEP_4) | instskip(SKIP_4) | instid1(VALU_DEP_4)
	v_add_f32_e32 v113, v48, v50
	v_fmac_f32_e32 v112, v49, v38
	v_add_f32_e32 v49, v102, v46
	v_add_f32_e32 v51, v46, v47
	v_dual_sub_f32 v115, v114, v116 :: v_dual_add_nc_u32 v108, 0x1400, v98
	v_sub_f32_e32 v53, v110, v112
	v_add_f32_e32 v109, v110, v112
	v_dual_add_f32 v117, v105, v114 :: v_dual_add_f32 v114, v114, v116
	v_add_f32_e32 v52, v103, v110
	v_sub_f32_e32 v118, v48, v50
	v_fma_f32 v48, -0.5, v51, v102
	s_delay_alu instid0(VALU_DEP_4)
	v_dual_add_f32 v51, v117, v116 :: v_dual_sub_f32 v110, v46, v47
	v_dual_add_f32 v46, v49, v47 :: v_dual_fmac_f32 v105, -0.5, v114
	v_fma_f32 v49, -0.5, v109, v103
	v_dual_add_f32 v47, v52, v112 :: v_dual_add_f32 v50, v111, v50
	v_mul_f32_e32 v111, v106, v43
	v_fma_f32 v104, -0.5, v113, v104
	v_fmamk_f32 v52, v53, 0x3f5db3d7, v48
	v_dual_fmac_f32 v48, 0xbf5db3d7, v53 :: v_dual_mul_f32 v109, v107, v43
	v_fmamk_f32 v53, v110, 0xbf5db3d7, v49
	v_fmac_f32_e32 v49, 0x3f5db3d7, v110
	v_mul_f32_e32 v103, v55, v41
	v_dual_mul_f32 v110, v54, v41 :: v_dual_fmac_f32 v111, v107, v42
	v_fmamk_f32 v102, v115, 0x3f5db3d7, v104
	v_fmac_f32_e32 v104, 0xbf5db3d7, v115
	s_delay_alu instid0(VALU_DEP_4) | instskip(SKIP_3) | instid1(VALU_DEP_2)
	v_fma_f32 v54, v54, v40, -v103
	v_fma_f32 v106, v106, v42, -v109
	v_dual_fmac_f32 v110, v55, v40 :: v_dual_fmamk_f32 v103, v118, 0xbf5db3d7, v105
	v_fmac_f32_e32 v105, 0x3f5db3d7, v118
	v_dual_add_f32 v107, v44, v54 :: v_dual_sub_f32 v112, v110, v111
	s_delay_alu instid0(VALU_DEP_4) | instskip(SKIP_1) | instid1(VALU_DEP_2)
	v_add_f32_e32 v55, v54, v106
	v_dual_add_f32 v109, v110, v111 :: v_dual_add_f32 v110, v45, v110
	v_fma_f32 v44, -0.5, v55, v44
	v_sub_f32_e32 v113, v54, v106
	s_delay_alu instid0(VALU_DEP_3) | instskip(NEXT) | instid1(VALU_DEP_3)
	v_dual_fmac_f32 v45, -0.5, v109 :: v_dual_add_f32 v54, v107, v106
	v_dual_add_f32 v55, v110, v111 :: v_dual_fmamk_f32 v106, v112, 0x3f5db3d7, v44
	s_delay_alu instid0(VALU_DEP_2)
	v_dual_fmac_f32 v44, 0xbf5db3d7, v112 :: v_dual_fmamk_f32 v107, v113, 0xbf5db3d7, v45
	v_fmac_f32_e32 v45, 0x3f5db3d7, v113
	ds_store_2addr_b64 v92, v[46:47], v[52:53] offset1:117
	ds_store_2addr_b64 v62, v[48:49], v[50:51] offset0:106 offset1:223
	ds_store_2addr_b64 v100, v[102:103], v[104:105] offset0:84 offset1:201
	;; [unrolled: 1-line block ×3, first 2 shown]
	ds_store_b64 v98, v[44:45] offset:7488
	v_lshlrev_b32_e32 v44, 4, v67
	global_wb scope:SCOPE_SE
	s_wait_dscnt 0x0
	s_barrier_signal -1
	s_barrier_wait -1
	global_inv scope:SCOPE_SE
	s_clause 0x2
	global_load_b128 v[52:55], v63, s[10:11] offset:2784
	global_load_b128 v[48:51], v99, s[10:11] offset:2784
	;; [unrolled: 1-line block ×3, first 2 shown]
	ds_load_2addr_b64 v[102:105], v62 offset0:106 offset1:223
	ds_load_2addr_b64 v[106:109], v101 offset0:62 offset1:179
	ds_load_2addr_b64 v[110:113], v100 offset0:84 offset1:201
	ds_load_b64 v[118:119], v92 offset:7488
	v_add_nc_u32_e32 v99, 0x1800, v92
	ds_load_2addr_b64 v[114:117], v92 offset1:117
	s_wait_loadcnt_dscnt 0x103
	v_mul_f32_e32 v124, v109, v51
	s_wait_loadcnt_dscnt 0x1
	v_dual_mul_f32 v63, v105, v53 :: v_dual_mul_f32 v128, v119, v47
	v_mul_f32_e32 v120, v107, v55
	v_dual_mul_f32 v121, v106, v55 :: v_dual_mul_f32 v126, v113, v45
	v_mul_f32_e32 v125, v108, v51
	v_mul_f32_e32 v127, v112, v45
	v_fma_f32 v63, v104, v52, -v63
	v_fma_f32 v108, v108, v50, -v124
	v_mul_f32_e32 v67, v104, v53
	v_fma_f32 v104, v106, v54, -v120
	v_fma_f32 v106, v112, v44, -v126
	v_mul_f32_e32 v122, v111, v49
	s_delay_alu instid0(VALU_DEP_2) | instskip(SKIP_1) | instid1(VALU_DEP_2)
	v_dual_add_f32 v124, v102, v106 :: v_dual_fmac_f32 v127, v113, v44
	v_mul_f32_e32 v123, v110, v49
	v_dual_fmac_f32 v125, v109, v50 :: v_dual_add_f32 v130, v103, v127
	s_delay_alu instid0(VALU_DEP_2)
	v_fmac_f32_e32 v123, v111, v48
	v_fmac_f32_e32 v67, v105, v52
	v_fma_f32 v105, v110, v48, -v122
	v_mul_f32_e32 v129, v118, v47
	v_fma_f32 v110, v118, v46, -v128
	s_wait_dscnt 0x0
	s_delay_alu instid0(VALU_DEP_3) | instskip(SKIP_1) | instid1(VALU_DEP_3)
	v_add_f32_e32 v112, v116, v105
	v_add_f32_e32 v118, v105, v108
	;; [unrolled: 1-line block ×3, first 2 shown]
	v_sub_f32_e32 v131, v106, v110
	v_fmac_f32_e32 v121, v107, v54
	v_add_f32_e32 v110, v124, v110
	v_fma_f32 v116, -0.5, v118, v116
	v_add_f32_e32 v109, v63, v104
	v_fma_f32 v102, -0.5, v126, v102
	v_add_f32_e32 v120, v117, v123
	s_delay_alu instid0(VALU_DEP_3) | instskip(SKIP_1) | instid1(VALU_DEP_1)
	v_fma_f32 v106, -0.5, v109, v114
	v_fmac_f32_e32 v129, v119, v46
	v_sub_f32_e32 v128, v127, v129
	v_sub_f32_e32 v119, v123, v125
	v_dual_add_f32 v122, v123, v125 :: v_dual_sub_f32 v123, v105, v108
	v_dual_add_f32 v108, v112, v108 :: v_dual_sub_f32 v113, v67, v121
	s_delay_alu instid0(VALU_DEP_4) | instskip(SKIP_1) | instid1(VALU_DEP_3)
	v_dual_fmamk_f32 v118, v128, 0x3f5db3d7, v102 :: v_dual_add_f32 v107, v114, v63
	v_dual_add_f32 v111, v115, v67 :: v_dual_fmac_f32 v102, 0xbf5db3d7, v128
	v_dual_add_f32 v67, v67, v121 :: v_dual_fmamk_f32 v112, v113, 0x3f5db3d7, v106
	v_add_f32_e32 v127, v127, v129
	v_dual_sub_f32 v63, v63, v104 :: v_dual_fmac_f32 v106, 0xbf5db3d7, v113
	v_add_f32_e32 v104, v107, v104
	s_delay_alu instid0(VALU_DEP_4)
	v_fma_f32 v107, -0.5, v67, v115
	v_fmac_f32_e32 v117, -0.5, v122
	v_fmac_f32_e32 v103, -0.5, v127
	v_add_f32_e32 v105, v111, v121
	v_add_f32_e32 v109, v120, v125
	v_fmamk_f32 v113, v63, 0xbf5db3d7, v107
	v_fmac_f32_e32 v107, 0x3f5db3d7, v63
	v_dual_add_f32 v111, v130, v129 :: v_dual_fmamk_f32 v114, v119, 0x3f5db3d7, v116
	v_dual_fmac_f32 v116, 0xbf5db3d7, v119 :: v_dual_fmamk_f32 v115, v123, 0xbf5db3d7, v117
	v_fmamk_f32 v119, v131, 0xbf5db3d7, v103
	v_fmac_f32_e32 v117, 0x3f5db3d7, v123
	v_fmac_f32_e32 v103, 0x3f5db3d7, v131
	ds_store_b64 v92, v[112:113] offset:2808
	ds_store_b64 v92, v[106:107] offset:5616
	ds_store_2addr_b64 v92, v[104:105], v[108:109] offset1:117
	ds_store_b64 v92, v[110:111] offset:1872
	ds_store_2addr_b64 v100, v[114:115], v[118:119] offset0:84 offset1:201
	ds_store_2addr_b64 v99, v[116:117], v[102:103] offset0:51 offset1:168
	global_wb scope:SCOPE_SE
	s_wait_dscnt 0x0
	s_barrier_signal -1
	s_barrier_wait -1
	global_inv scope:SCOPE_SE
	global_load_b64 v[60:61], v[60:61], off offset:8424
	v_lshlrev_b32_e32 v63, 3, v91
	s_clause 0x7
	global_load_b64 v[118:119], v63, s[2:3] offset:936
	global_load_b64 v[120:121], v63, s[2:3] offset:7488
	global_load_b64 v[122:123], v63, s[2:3] offset:2808
	global_load_b64 v[124:125], v63, s[2:3] offset:5616
	global_load_b64 v[126:127], v63, s[2:3] offset:3744
	global_load_b64 v[128:129], v63, s[2:3] offset:6552
	global_load_b64 v[130:131], v63, s[2:3] offset:1872
	global_load_b64 v[132:133], v63, s[2:3] offset:4680
	ds_load_2addr_b64 v[102:105], v92 offset1:117
	ds_load_b64 v[134:135], v92 offset:7488
	s_wait_loadcnt_dscnt 0x801
	v_mul_f32_e32 v63, v103, v61
	v_mul_f32_e32 v107, v102, v61
	s_wait_loadcnt 0x7
	v_mul_f32_e32 v61, v104, v119
	s_delay_alu instid0(VALU_DEP_3) | instskip(NEXT) | instid1(VALU_DEP_3)
	v_fma_f32 v106, v102, v60, -v63
	v_dual_fmac_f32 v107, v103, v60 :: v_dual_mul_f32 v60, v105, v119
	s_wait_loadcnt_dscnt 0x600
	v_mul_f32_e32 v63, v135, v121
	v_mul_f32_e32 v119, v134, v121
	v_fmac_f32_e32 v61, v105, v118
	ds_store_b64 v92, v[106:107]
	ds_load_2addr_b64 v[106:109], v62 offset0:106 offset1:223
	ds_load_2addr_b64 v[110:113], v101 offset0:62 offset1:179
	;; [unrolled: 1-line block ×3, first 2 shown]
	v_fma_f32 v60, v104, v118, -v60
	v_fma_f32 v118, v134, v120, -v63
	v_fmac_f32_e32 v119, v135, v120
	v_add_nc_u32_e32 v102, 0x800, v92
	v_add_nc_u32_e32 v103, 0x1000, v92
	s_wait_loadcnt_dscnt 0x502
	v_mul_f32_e32 v63, v109, v123
	v_mul_f32_e32 v105, v108, v123
	s_wait_loadcnt_dscnt 0x300
	v_mul_f32_e32 v134, v115, v127
	v_mul_f32_e32 v123, v114, v127
	;; [unrolled: 1-line block ×4, first 2 shown]
	s_wait_loadcnt 0x2
	v_mul_f32_e32 v135, v113, v129
	v_mul_f32_e32 v125, v112, v129
	s_wait_loadcnt 0x1
	v_mul_f32_e32 v129, v107, v131
	s_wait_loadcnt 0x0
	v_dual_mul_f32 v127, v106, v131 :: v_dual_mul_f32 v136, v117, v133
	v_mul_f32_e32 v131, v116, v133
	v_fma_f32 v104, v108, v122, -v63
	v_fmac_f32_e32 v105, v109, v122
	v_fma_f32 v122, v114, v126, -v134
	v_fmac_f32_e32 v123, v115, v126
	v_fma_f32 v126, v106, v130, -v129
	v_fmac_f32_e32 v127, v107, v130
	v_fma_f32 v120, v110, v124, -v67
	v_fmac_f32_e32 v121, v111, v124
	v_fma_f32 v130, v116, v132, -v136
	v_fmac_f32_e32 v131, v117, v132
	v_fma_f32 v124, v112, v128, -v135
	v_fmac_f32_e32 v125, v113, v128
	ds_store_2addr_b64 v102, v[104:105], v[122:123] offset0:95 offset1:212
	ds_store_2addr_b64 v92, v[60:61], v[126:127] offset0:117 offset1:234
	;; [unrolled: 1-line block ×4, first 2 shown]
	global_wb scope:SCOPE_SE
	s_wait_dscnt 0x0
	s_barrier_signal -1
	s_barrier_wait -1
	global_inv scope:SCOPE_SE
	ds_load_2addr_b64 v[104:107], v92 offset1:117
	ds_load_2addr_b64 v[108:111], v62 offset0:106 offset1:223
	ds_load_2addr_b64 v[112:115], v101 offset0:62 offset1:179
	;; [unrolled: 1-line block ×3, first 2 shown]
	ds_load_b64 v[60:61], v92 offset:7488
	global_wb scope:SCOPE_SE
	s_wait_dscnt 0x0
	s_barrier_signal -1
	s_barrier_wait -1
	global_inv scope:SCOPE_SE
	v_add_f32_e32 v63, v104, v110
	v_dual_add_f32 v67, v110, v112 :: v_dual_add_f32 v122, v111, v113
	v_dual_add_f32 v125, v116, v114 :: v_dual_sub_f32 v126, v117, v115
	v_add_f32_e32 v127, v107, v117
	v_add_f32_e32 v117, v117, v115
	v_dual_add_f32 v129, v118, v60 :: v_dual_sub_f32 v130, v119, v61
	v_add_f32_e32 v131, v109, v119
	v_add_f32_e32 v119, v119, v61
	v_dual_sub_f32 v120, v111, v113 :: v_dual_add_f32 v121, v105, v111
	v_sub_f32_e32 v123, v110, v112
	v_add_f32_e32 v124, v106, v116
	v_fma_f32 v104, -0.5, v67, v104
	v_fma_f32 v105, -0.5, v122, v105
	v_sub_f32_e32 v128, v116, v114
	v_add_f32_e32 v116, v108, v118
	v_fma_f32 v106, -0.5, v125, v106
	v_dual_fmac_f32 v107, -0.5, v117 :: v_dual_sub_f32 v132, v118, v60
	v_fma_f32 v108, -0.5, v129, v108
	v_dual_fmac_f32 v109, -0.5, v119 :: v_dual_add_f32 v110, v63, v112
	v_dual_add_f32 v111, v121, v113 :: v_dual_add_f32 v112, v124, v114
	v_dual_add_f32 v113, v127, v115 :: v_dual_fmamk_f32 v114, v120, 0xbf5db3d7, v104
	v_dual_fmamk_f32 v115, v123, 0x3f5db3d7, v105 :: v_dual_fmac_f32 v104, 0x3f5db3d7, v120
	v_dual_fmac_f32 v105, 0xbf5db3d7, v123 :: v_dual_add_f32 v60, v116, v60
	v_fmamk_f32 v116, v126, 0xbf5db3d7, v106
	v_dual_fmamk_f32 v117, v128, 0x3f5db3d7, v107 :: v_dual_fmac_f32 v106, 0x3f5db3d7, v126
	v_fmac_f32_e32 v107, 0xbf5db3d7, v128
	v_dual_add_f32 v61, v131, v61 :: v_dual_fmamk_f32 v118, v130, 0xbf5db3d7, v108
	v_dual_fmac_f32 v108, 0x3f5db3d7, v130 :: v_dual_fmamk_f32 v119, v132, 0x3f5db3d7, v109
	v_fmac_f32_e32 v109, 0xbf5db3d7, v132
	ds_store_2addr_b64 v64, v[110:111], v[114:115] offset1:1
	ds_store_b64 v64, v[104:105] offset:16
	ds_store_2addr_b64 v66, v[112:113], v[116:117] offset1:1
	ds_store_b64 v66, v[106:107] offset:16
	;; [unrolled: 2-line block ×3, first 2 shown]
	global_wb scope:SCOPE_SE
	s_wait_dscnt 0x0
	s_barrier_signal -1
	s_barrier_wait -1
	global_inv scope:SCOPE_SE
	ds_load_2addr_b64 v[60:63], v62 offset0:106 offset1:223
	ds_load_2addr_b64 v[104:107], v101 offset0:62 offset1:179
	;; [unrolled: 1-line block ×3, first 2 shown]
	ds_load_b64 v[112:113], v92 offset:7488
	ds_load_2addr_b64 v[64:67], v92 offset1:117
	global_wb scope:SCOPE_SE
	s_wait_dscnt 0x0
	s_barrier_signal -1
	s_barrier_wait -1
	global_inv scope:SCOPE_SE
	v_mul_f32_e32 v101, v17, v63
	v_dual_mul_f32 v17, v17, v62 :: v_dual_mul_f32 v114, v19, v105
	v_mul_f32_e32 v19, v19, v104
	v_mul_f32_e32 v115, v13, v109
	v_dual_mul_f32 v13, v13, v108 :: v_dual_mul_f32 v116, v15, v107
	v_mul_f32_e32 v15, v15, v106
	;; [unrolled: 3-line block ×3, first 2 shown]
	v_fmac_f32_e32 v101, v16, v62
	v_fma_f32 v16, v16, v63, -v17
	v_fmac_f32_e32 v114, v18, v104
	v_fma_f32 v17, v18, v105, -v19
	;; [unrolled: 2-line block ×6, first 2 shown]
	v_add_f32_e32 v9, v64, v101
	v_add_f32_e32 v11, v101, v114
	v_dual_add_f32 v15, v65, v16 :: v_dual_add_f32 v18, v16, v17
	v_dual_sub_f32 v62, v101, v114 :: v_dual_add_f32 v63, v115, v116
	v_dual_sub_f32 v101, v12, v13 :: v_dual_add_f32 v104, v67, v12
	v_dual_add_f32 v12, v12, v13 :: v_dual_add_f32 v107, v117, v118
	v_add_f32_e32 v110, v8, v10
	v_dual_sub_f32 v14, v16, v17 :: v_dual_add_f32 v19, v66, v115
	v_dual_sub_f32 v105, v115, v116 :: v_dual_add_f32 v106, v60, v117
	v_dual_sub_f32 v108, v8, v10 :: v_dual_add_f32 v109, v61, v8
	v_sub_f32_e32 v111, v117, v118
	v_add_f32_e32 v8, v9, v114
	v_fma_f32 v16, -0.5, v11, v64
	v_add_f32_e32 v9, v15, v17
	v_fma_f32 v17, -0.5, v18, v65
	v_fma_f32 v66, -0.5, v63, v66
	v_fmac_f32_e32 v67, -0.5, v12
	v_fma_f32 v60, -0.5, v107, v60
	v_dual_fmac_f32 v61, -0.5, v110 :: v_dual_add_f32 v18, v19, v116
	v_dual_add_f32 v19, v104, v13 :: v_dual_add_f32 v12, v106, v118
	v_dual_add_f32 v13, v109, v10 :: v_dual_fmamk_f32 v10, v14, 0xbf5db3d7, v16
	v_dual_fmac_f32 v16, 0x3f5db3d7, v14 :: v_dual_fmamk_f32 v11, v62, 0x3f5db3d7, v17
	v_dual_fmac_f32 v17, 0xbf5db3d7, v62 :: v_dual_fmamk_f32 v64, v101, 0xbf5db3d7, v66
	v_dual_fmac_f32 v66, 0x3f5db3d7, v101 :: v_dual_fmamk_f32 v65, v105, 0x3f5db3d7, v67
	v_dual_fmac_f32 v67, 0xbf5db3d7, v105 :: v_dual_fmamk_f32 v14, v108, 0xbf5db3d7, v60
	v_dual_fmac_f32 v60, 0x3f5db3d7, v108 :: v_dual_fmamk_f32 v15, v111, 0x3f5db3d7, v61
	v_fmac_f32_e32 v61, 0xbf5db3d7, v111
	ds_store_2addr_b64 v97, v[8:9], v[10:11] offset1:3
	ds_store_b64 v97, v[16:17] offset:48
	ds_store_2addr_b64 v96, v[18:19], v[64:65] offset1:3
	ds_store_b64 v96, v[66:67] offset:48
	;; [unrolled: 2-line block ×3, first 2 shown]
	global_wb scope:SCOPE_SE
	s_wait_dscnt 0x0
	s_barrier_signal -1
	s_barrier_wait -1
	global_inv scope:SCOPE_SE
	s_and_saveexec_b32 s2, vcc_lo
	s_cbranch_execz .LBB0_7
; %bb.6:
	ds_load_2addr_b64 v[60:63], v103 offset0:136 offset1:217
	ds_load_2addr_b64 v[8:11], v92 offset1:81
	ds_load_2addr_b64 v[16:19], v92 offset0:162 offset1:243
	ds_load_2addr_b64 v[64:67], v102 offset0:68 offset1:149
	;; [unrolled: 1-line block ×4, first 2 shown]
	ds_load_b64 v[89:90], v92 offset:7776
	s_wait_dscnt 0x6
	v_dual_mov_b32 v87, v62 :: v_dual_mov_b32 v88, v63
.LBB0_7:
	s_wait_alu 0xfffe
	s_or_b32 exec_lo, exec_lo, s2
	global_wb scope:SCOPE_SE
	s_wait_dscnt 0x0
	s_barrier_signal -1
	s_barrier_wait -1
	global_inv scope:SCOPE_SE
	s_and_saveexec_b32 s2, vcc_lo
	s_cbranch_execz .LBB0_9
; %bb.8:
	v_dual_mul_f32 v62, v35, v89 :: v_dual_mul_f32 v63, v25, v10
	v_mul_f32_e32 v95, v25, v11
	v_mul_f32_e32 v25, v35, v90
	;; [unrolled: 1-line block ×3, first 2 shown]
	s_delay_alu instid0(VALU_DEP_4) | instskip(SKIP_1) | instid1(VALU_DEP_4)
	v_fma_f32 v35, v34, v90, -v62
	v_fma_f32 v62, v24, v11, -v63
	v_fmac_f32_e32 v25, v34, v89
	s_delay_alu instid0(VALU_DEP_4) | instskip(NEXT) | instid1(VALU_DEP_3)
	v_fmac_f32_e32 v104, v6, v12
	v_add_f32_e32 v34, v35, v62
	v_dual_fmac_f32 v95, v24, v10 :: v_dual_mul_f32 v24, v33, v59
	v_mul_f32_e32 v63, v27, v16
	s_delay_alu instid0(VALU_DEP_3) | instskip(NEXT) | instid1(VALU_DEP_3)
	v_dual_mul_f32 v27, v27, v17 :: v_dual_mul_f32 v90, 0xbf788fa5, v34
	v_dual_sub_f32 v99, v62, v35 :: v_dual_fmac_f32 v24, v32, v58
	v_mul_f32_e32 v11, v33, v58
	s_delay_alu instid0(VALU_DEP_4) | instskip(SKIP_2) | instid1(VALU_DEP_4)
	v_fma_f32 v63, v26, v17, -v63
	v_mul_f32_e32 v58, v21, v19
	v_dual_sub_f32 v10, v95, v25 :: v_dual_fmac_f32 v27, v26, v16
	v_fma_f32 v89, v32, v59, -v11
	s_delay_alu instid0(VALU_DEP_3) | instskip(SKIP_1) | instid1(VALU_DEP_4)
	v_dual_mul_f32 v11, v31, v56 :: v_dual_fmac_f32 v58, v20, v18
	v_mul_f32_e32 v31, v31, v57
	v_fmamk_f32 v59, v10, 0x3e750f2a, v90
	s_delay_alu instid0(VALU_DEP_4) | instskip(NEXT) | instid1(VALU_DEP_4)
	v_add_f32_e32 v33, v89, v63
	v_fma_f32 v26, v30, v57, -v11
	v_sub_f32_e32 v11, v27, v24
	v_fmac_f32_e32 v31, v30, v56
	v_sub_f32_e32 v103, v63, v89
	v_mul_f32_e32 v57, 0x3f62ad3f, v33
	v_mul_f32_e32 v113, 0xbf3f9e67, v34
	v_mul_f32_e32 v164, 0x3f62ad3f, v34
	v_dual_sub_f32 v16, v58, v31 :: v_dual_mul_f32 v17, v21, v18
	s_delay_alu instid0(VALU_DEP_4)
	v_fmamk_f32 v18, v11, 0xbeedf032, v57
	v_mul_f32_e32 v106, 0x3eedf032, v103
	v_fmac_f32_e32 v90, 0xbe750f2a, v10
	v_add_f32_e32 v62, v62, v9
	v_fma_f32 v32, v20, v19, -v17
	v_dual_mul_f32 v19, v29, v87 :: v_dual_mul_f32 v20, v23, v64
	v_add_f32_e32 v17, v9, v59
	v_mul_f32_e32 v29, v29, v88
	s_delay_alu instid0(VALU_DEP_4) | instskip(NEXT) | instid1(VALU_DEP_4)
	v_add_f32_e32 v96, v26, v32
	v_fma_f32 v56, v28, v88, -v19
	v_fma_f32 v59, v22, v65, -v20
	v_add_f32_e32 v18, v18, v17
	v_mul_f32_e32 v65, v23, v65
	v_mul_f32_e32 v17, v3, v60
	;; [unrolled: 1-line block ×3, first 2 shown]
	v_fmac_f32_e32 v29, v28, v87
	v_sub_f32_e32 v107, v32, v26
	v_fmac_f32_e32 v65, v22, v64
	v_fma_f32 v28, v2, v61, -v17
	v_fma_f32 v64, v4, v67, -v19
	s_delay_alu instid0(VALU_DEP_4) | instskip(SKIP_2) | instid1(VALU_DEP_4)
	v_dual_mul_f32 v61, v3, v61 :: v_dual_mul_f32 v108, 0xbf29c268, v107
	v_mul_f32_e32 v30, 0xbf3f9e67, v96
	v_add_f32_e32 v88, v56, v59
	v_add_f32_e32 v97, v28, v64
	s_delay_alu instid0(VALU_DEP_4) | instskip(SKIP_1) | instid1(VALU_DEP_3)
	v_dual_fmac_f32 v61, v2, v60 :: v_dual_mul_f32 v116, 0x3df6dbef, v33
	v_mul_f32_e32 v105, v1, v15
	v_dual_add_f32 v19, v25, v95 :: v_dual_mul_f32 v60, 0xbeb58ec6, v97
	v_dual_mul_f32 v67, v5, v67 :: v_dual_mul_f32 v120, 0xbf788fa5, v88
	s_delay_alu instid0(VALU_DEP_3)
	v_fmac_f32_e32 v105, v0, v14
	v_mul_f32_e32 v101, 0xbe750f2a, v99
	v_fmamk_f32 v21, v16, 0x3f29c268, v30
	v_mul_f32_e32 v5, v7, v12
	v_dual_add_f32 v7, v24, v27 :: v_dual_mul_f32 v118, 0x3f116cb1, v96
	v_add_f32_e32 v12, v31, v58
	v_fmac_f32_e32 v67, v4, v66
	v_mul_f32_e32 v4, v1, v14
	v_dual_add_f32 v14, v105, v104 :: v_dual_fmamk_f32 v1, v19, 0xbf788fa5, v101
	v_mul_f32_e32 v87, 0x3f116cb1, v88
	v_fma_f32 v100, v6, v13, -v5
	v_sub_f32_e32 v6, v104, v105
	v_fma_f32 v66, v0, v15, -v4
	v_add_f32_e32 v0, v8, v1
	v_dual_sub_f32 v17, v65, v29 :: v_dual_sub_f32 v110, v59, v56
	v_dual_fmamk_f32 v1, v7, 0x3f62ad3f, v106 :: v_dual_add_f32 v2, v21, v18
	s_delay_alu instid0(VALU_DEP_2) | instskip(SKIP_1) | instid1(VALU_DEP_3)
	v_dual_add_f32 v102, v66, v100 :: v_dual_fmamk_f32 v3, v17, 0xbf52af12, v87
	v_sub_f32_e32 v112, v64, v28
	v_add_f32_e32 v0, v1, v0
	s_delay_alu instid0(VALU_DEP_3) | instskip(NEXT) | instid1(VALU_DEP_4)
	v_dual_sub_f32 v18, v67, v61 :: v_dual_mul_f32 v109, 0x3df6dbef, v102
	v_dual_add_f32 v2, v3, v2 :: v_dual_fmamk_f32 v1, v12, 0xbf3f9e67, v108
	v_mul_f32_e32 v128, 0xbf3f9e67, v33
	s_delay_alu instid0(VALU_DEP_3) | instskip(SKIP_1) | instid1(VALU_DEP_4)
	v_fmamk_f32 v3, v18, 0x3f6f5d39, v60
	v_add_f32_e32 v13, v29, v65
	v_dual_mul_f32 v111, 0x3f52af12, v110 :: v_dual_add_f32 v0, v1, v0
	v_mul_f32_e32 v114, 0xbf6f5d39, v112
	s_delay_alu instid0(VALU_DEP_4) | instskip(NEXT) | instid1(VALU_DEP_3)
	v_dual_add_f32 v2, v3, v2 :: v_dual_fmamk_f32 v3, v6, 0xbf7e222b, v109
	v_fmamk_f32 v4, v13, 0x3f116cb1, v111
	v_dual_add_f32 v15, v61, v67 :: v_dual_mul_f32 v122, 0x3f62ad3f, v97
	v_sub_f32_e32 v115, v100, v66
	s_delay_alu instid0(VALU_DEP_4) | instskip(NEXT) | instid1(VALU_DEP_4)
	v_dual_add_f32 v1, v3, v2 :: v_dual_fmamk_f32 v2, v10, 0x3f29c268, v113
	v_add_f32_e32 v0, v4, v0
	v_fmamk_f32 v4, v11, 0xbf7e222b, v116
	v_dual_fmamk_f32 v3, v15, 0xbeb58ec6, v114 :: v_dual_mul_f32 v124, 0xbeb58ec6, v102
	s_delay_alu instid0(VALU_DEP_4) | instskip(NEXT) | instid1(VALU_DEP_2)
	v_dual_add_f32 v2, v9, v2 :: v_dual_mul_f32 v119, 0xbf29c268, v99
	v_dual_mul_f32 v121, 0x3f7e222b, v103 :: v_dual_add_f32 v0, v3, v0
	s_delay_alu instid0(VALU_DEP_2) | instskip(SKIP_1) | instid1(VALU_DEP_3)
	v_dual_mul_f32 v123, 0xbf52af12, v107 :: v_dual_add_f32 v2, v4, v2
	v_fmamk_f32 v4, v16, 0x3f52af12, v118
	v_dual_fmamk_f32 v5, v7, 0x3df6dbef, v121 :: v_dual_mul_f32 v132, 0x3df6dbef, v88
	v_mul_f32_e32 v125, 0x3e750f2a, v110
	v_mul_f32_e32 v126, 0xbeb58ec6, v34
	s_delay_alu instid0(VALU_DEP_4) | instskip(SKIP_4) | instid1(VALU_DEP_4)
	v_add_f32_e32 v2, v4, v2
	v_fmamk_f32 v4, v17, 0xbe750f2a, v120
	v_mul_f32_e32 v149, 0x3eedf032, v110
	v_mul_f32_e32 v136, 0x3f116cb1, v102
	;; [unrolled: 1-line block ×3, first 2 shown]
	v_dual_mul_f32 v139, 0x3e750f2a, v112 :: v_dual_add_f32 v2, v4, v2
	v_fmamk_f32 v4, v18, 0xbeedf032, v122
	v_mul_f32_e32 v117, 0x3f7e222b, v115
	v_fmamk_f32 v151, v13, 0x3f62ad3f, v149
	v_mul_f32_e32 v127, 0x3eedf032, v112
	s_delay_alu instid0(VALU_DEP_4) | instskip(NEXT) | instid1(VALU_DEP_4)
	v_dual_mul_f32 v129, 0xbf6f5d39, v115 :: v_dual_add_f32 v2, v4, v2
	v_fmamk_f32 v3, v14, 0x3df6dbef, v117
	v_fmamk_f32 v4, v6, 0x3f6f5d39, v124
	;; [unrolled: 1-line block ×3, first 2 shown]
	v_mul_f32_e32 v130, 0x3f62ad3f, v96
	v_fmamk_f32 v22, v11, 0x3e750f2a, v140
	v_add_f32_e32 v0, v3, v0
	v_fmamk_f32 v3, v19, 0xbf3f9e67, v119
	v_mul_f32_e32 v145, 0xbe750f2a, v103
	v_fmamk_f32 v21, v16, 0xbeedf032, v130
	v_mul_f32_e32 v153, 0xbeb58ec6, v33
	s_delay_alu instid0(VALU_DEP_4) | instskip(SKIP_2) | instid1(VALU_DEP_4)
	v_dual_mul_f32 v134, 0xbf788fa5, v97 :: v_dual_add_f32 v3, v8, v3
	v_mul_f32_e32 v147, 0x3f6f5d39, v107
	v_mul_f32_e32 v138, 0x3df6dbef, v34
	v_fmamk_f32 v154, v11, 0x3f6f5d39, v153
	v_fmamk_f32 v23, v7, 0xbf788fa5, v145
	v_add_f32_e32 v3, v5, v3
	v_fmamk_f32 v5, v12, 0x3f116cb1, v123
	v_mul_f32_e32 v133, 0x3f29c268, v103
	v_mul_f32_e32 v142, 0xbeb58ec6, v96
	v_mul_f32_e32 v135, 0x3eedf032, v107
	s_delay_alu instid0(VALU_DEP_4) | instskip(SKIP_3) | instid1(VALU_DEP_4)
	v_dual_mul_f32 v146, 0x3f116cb1, v97 :: v_dual_add_f32 v5, v5, v3
	v_dual_add_f32 v3, v4, v2 :: v_dual_fmamk_f32 v2, v10, 0x3f6f5d39, v126
	v_mul_f32_e32 v141, 0x3f52af12, v115
	v_mul_f32_e32 v148, 0xbf3f9e67, v102
	v_dual_add_f32 v4, v20, v5 :: v_dual_fmamk_f32 v5, v15, 0x3f62ad3f, v127
	s_delay_alu instid0(VALU_DEP_4) | instskip(SKIP_4) | instid1(VALU_DEP_4)
	v_add_f32_e32 v2, v9, v2
	v_fmamk_f32 v20, v11, 0xbf29c268, v128
	v_mul_f32_e32 v161, 0xbe750f2a, v107
	v_mul_f32_e32 v155, 0xbf788fa5, v96
	v_dual_add_f32 v4, v5, v4 :: v_dual_fmamk_f32 v5, v14, 0xbeb58ec6, v129
	v_add_f32_e32 v20, v20, v2
	v_mul_f32_e32 v144, 0x3f62ad3f, v88
	v_mul_f32_e32 v163, 0x3f29c268, v110
	v_mul_f32_e32 v152, 0xbf52af12, v112
	v_add_f32_e32 v2, v5, v4
	v_add_f32_e32 v5, v21, v20
	v_fmamk_f32 v20, v17, 0x3f7e222b, v132
	v_mul_f32_e32 v159, 0xbf6f5d39, v103
	v_mul_f32_e32 v158, 0xbf3f9e67, v88
	;; [unrolled: 1-line block ×3, first 2 shown]
	s_delay_alu instid0(VALU_DEP_4) | instskip(SKIP_4) | instid1(VALU_DEP_4)
	v_dual_mul_f32 v166, 0x3eedf032, v115 :: v_dual_add_f32 v5, v20, v5
	v_fmamk_f32 v20, v18, 0xbe750f2a, v134
	v_fmamk_f32 v160, v7, 0xbeb58ec6, v159
	v_mul_f32_e32 v162, 0x3f62ad3f, v102
	v_mul_f32_e32 v88, 0xbeb58ec6, v88
	v_dual_fmac_f32 v118, 0xbf52af12, v16 :: v_dual_add_f32 v5, v20, v5
	v_fmamk_f32 v20, v6, 0xbf52af12, v136
	v_mul_f32_e32 v150, 0x3f116cb1, v34
	v_fmamk_f32 v34, v13, 0xbf3f9e67, v163
	v_fmamk_f32 v157, v16, 0x3e750f2a, v155
	s_delay_alu instid0(VALU_DEP_4)
	v_dual_fmac_f32 v30, 0xbf29c268, v16 :: v_dual_add_f32 v5, v20, v5
	v_fmamk_f32 v20, v10, 0x3f7e222b, v138
	v_mul_f32_e32 v131, 0xbf6f5d39, v99
	v_fmac_f32_e32 v116, 0x3f7e222b, v11
	v_fmac_f32_e32 v120, 0x3e750f2a, v17
	;; [unrolled: 1-line block ×3, first 2 shown]
	v_add_f32_e32 v20, v9, v20
	v_fmamk_f32 v4, v19, 0xbeb58ec6, v131
	v_fmac_f32_e32 v136, 0x3f52af12, v6
	v_fmac_f32_e32 v126, 0xbf6f5d39, v10
	;; [unrolled: 1-line block ×3, first 2 shown]
	v_add_f32_e32 v20, v22, v20
	v_add_f32_e32 v4, v8, v4
	v_fmamk_f32 v22, v16, 0xbf6f5d39, v142
	v_fmamk_f32 v21, v7, 0xbf3f9e67, v133
	v_fmac_f32_e32 v132, 0xbf7e222b, v17
	v_fmac_f32_e32 v134, 0x3e750f2a, v18
	s_delay_alu instid0(VALU_DEP_4) | instskip(NEXT) | instid1(VALU_DEP_4)
	v_dual_mul_f32 v165, 0x3f116cb1, v33 :: v_dual_add_f32 v20, v22, v20
	v_dual_add_f32 v4, v21, v4 :: v_dual_fmamk_f32 v21, v12, 0x3f62ad3f, v135
	v_fmamk_f32 v22, v17, 0xbeedf032, v144
	v_mul_f32_e32 v137, 0xbf7e222b, v110
	v_fmac_f32_e32 v144, 0x3eedf032, v17
	v_mul_f32_e32 v96, 0x3df6dbef, v96
	v_add_f32_e32 v4, v21, v4
	s_delay_alu instid0(VALU_DEP_4) | instskip(SKIP_2) | instid1(VALU_DEP_3)
	v_dual_add_f32 v20, v22, v20 :: v_dual_fmamk_f32 v21, v13, 0x3df6dbef, v137
	v_fmamk_f32 v22, v18, 0x3f52af12, v146
	v_dual_mul_f32 v143, 0xbf7e222b, v99 :: v_dual_fmac_f32 v138, 0xbf7e222b, v10
	v_dual_fmac_f32 v57, 0x3eedf032, v11 :: v_dual_add_f32 v4, v21, v4
	s_delay_alu instid0(VALU_DEP_3) | instskip(SKIP_3) | instid1(VALU_DEP_4)
	v_dual_add_f32 v20, v22, v20 :: v_dual_fmamk_f32 v21, v15, 0xbf788fa5, v139
	v_fmamk_f32 v22, v6, 0x3f29c268, v148
	v_fmac_f32_e32 v140, 0xbe750f2a, v11
	v_fmac_f32_e32 v113, 0xbf29c268, v10
	v_dual_fmac_f32 v109, 0x3f7e222b, v6 :: v_dual_add_f32 v4, v21, v4
	v_fmamk_f32 v21, v14, 0x3f116cb1, v141
	s_delay_alu instid0(VALU_DEP_1) | instskip(SKIP_1) | instid1(VALU_DEP_1)
	v_dual_fmac_f32 v87, 0x3f52af12, v17 :: v_dual_add_f32 v4, v21, v4
	v_fmamk_f32 v21, v19, 0x3df6dbef, v143
	v_add_f32_e32 v21, v8, v21
	s_delay_alu instid0(VALU_DEP_1) | instskip(SKIP_1) | instid1(VALU_DEP_1)
	v_add_f32_e32 v21, v23, v21
	v_fmamk_f32 v23, v12, 0xbeb58ec6, v147
	v_dual_fmac_f32 v142, 0x3f6f5d39, v16 :: v_dual_add_f32 v23, v23, v21
	v_add_f32_e32 v21, v22, v20
	v_fmamk_f32 v20, v10, 0x3f52af12, v150
	v_fmac_f32_e32 v150, 0xbf52af12, v10
	v_fmac_f32_e32 v146, 0xbf52af12, v18
	v_add_f32_e32 v22, v151, v23
	v_fmamk_f32 v23, v15, 0x3f116cb1, v152
	v_dual_mul_f32 v151, 0xbf29c268, v115 :: v_dual_add_f32 v20, v9, v20
	s_delay_alu instid0(VALU_DEP_1) | instskip(NEXT) | instid1(VALU_DEP_2)
	v_dual_add_f32 v22, v23, v22 :: v_dual_fmamk_f32 v23, v14, 0xbf3f9e67, v151
	v_add_f32_e32 v154, v154, v20
	v_fmac_f32_e32 v148, 0xbf29c268, v6
	s_delay_alu instid0(VALU_DEP_3) | instskip(SKIP_1) | instid1(VALU_DEP_1)
	v_add_f32_e32 v20, v23, v22
	v_fmamk_f32 v22, v19, 0x3f116cb1, v156
	v_dual_add_f32 v22, v8, v22 :: v_dual_fmac_f32 v153, 0xbf6f5d39, v11
	s_delay_alu instid0(VALU_DEP_1) | instskip(SKIP_1) | instid1(VALU_DEP_1)
	v_add_f32_e32 v22, v160, v22
	v_fmamk_f32 v160, v12, 0xbf788fa5, v161
	v_dual_fmac_f32 v155, 0xbe750f2a, v16 :: v_dual_add_f32 v22, v160, v22
	v_mul_f32_e32 v160, 0x3f7e222b, v112
	s_delay_alu instid0(VALU_DEP_1) | instskip(SKIP_2) | instid1(VALU_DEP_3)
	v_dual_add_f32 v22, v34, v22 :: v_dual_fmamk_f32 v33, v15, 0x3df6dbef, v160
	v_add_f32_e32 v23, v157, v154
	v_fmamk_f32 v154, v17, 0xbf29c268, v158
	v_dual_mul_f32 v157, 0x3df6dbef, v97 :: v_dual_add_f32 v22, v33, v22
	v_fmamk_f32 v33, v14, 0x3f62ad3f, v166
	s_delay_alu instid0(VALU_DEP_1) | instskip(SKIP_4) | instid1(VALU_DEP_4)
	v_dual_add_f32 v23, v154, v23 :: v_dual_add_f32 v22, v33, v22
	v_dual_add_f32 v33, v63, v62 :: v_dual_add_f32 v62, v8, v95
	v_fmamk_f32 v63, v17, 0x3f6f5d39, v88
	v_fmamk_f32 v154, v18, 0xbf7e222b, v157
	v_mul_f32_e32 v95, 0xbf3f9e67, v97
	v_dual_add_f32 v32, v32, v33 :: v_dual_add_f32 v27, v27, v62
	s_delay_alu instid0(VALU_DEP_3) | instskip(NEXT) | instid1(VALU_DEP_2)
	v_add_f32_e32 v23, v154, v23
	v_add_f32_e32 v27, v58, v27
	v_fmamk_f32 v154, v6, 0xbeedf032, v162
	v_fmac_f32_e32 v162, 0x3eedf032, v6
	v_fmac_f32_e32 v128, 0x3f29c268, v11
	s_delay_alu instid0(VALU_DEP_4) | instskip(SKIP_2) | instid1(VALU_DEP_3)
	v_add_f32_e32 v27, v65, v27
	v_dual_mul_f32 v65, 0xbf6f5d39, v110 :: v_dual_add_f32 v32, v59, v32
	v_add_f32_e32 v23, v154, v23
	v_dual_fmamk_f32 v154, v10, 0x3eedf032, v164 :: v_dual_add_f32 v27, v67, v27
	s_delay_alu instid0(VALU_DEP_3) | instskip(NEXT) | instid1(VALU_DEP_2)
	v_dual_mul_f32 v59, 0xbf52af12, v103 :: v_dual_add_f32 v32, v64, v32
	v_dual_mul_f32 v67, 0xbf29c268, v112 :: v_dual_add_f32 v34, v9, v154
	s_delay_alu instid0(VALU_DEP_3) | instskip(NEXT) | instid1(VALU_DEP_3)
	v_dual_fmamk_f32 v154, v11, 0x3f52af12, v165 :: v_dual_add_f32 v27, v104, v27
	v_add_f32_e32 v32, v100, v32
	v_mul_f32_e32 v64, 0xbf788fa5, v102
	v_fmac_f32_e32 v157, 0x3f7e222b, v18
	s_delay_alu instid0(VALU_DEP_4) | instskip(SKIP_4) | instid1(VALU_DEP_4)
	v_add_f32_e32 v34, v154, v34
	v_fmamk_f32 v154, v16, 0x3f7e222b, v96
	v_dual_add_f32 v32, v66, v32 :: v_dual_fmac_f32 v165, 0xbf52af12, v11
	v_fmac_f32_e32 v60, 0xbf6f5d39, v18
	v_fmac_f32_e32 v96, 0xbf7e222b, v16
	v_add_f32_e32 v34, v154, v34
	s_delay_alu instid0(VALU_DEP_4) | instskip(SKIP_2) | instid1(VALU_DEP_4)
	v_add_f32_e32 v28, v28, v32
	v_add_f32_e32 v32, v105, v27
	v_fmac_f32_e32 v122, 0x3eedf032, v18
	v_dual_fmac_f32 v158, 0x3f29c268, v17 :: v_dual_add_f32 v33, v63, v34
	s_delay_alu instid0(VALU_DEP_4) | instskip(NEXT) | instid1(VALU_DEP_4)
	v_add_f32_e32 v28, v56, v28
	v_add_f32_e32 v32, v61, v32
	v_fmamk_f32 v34, v18, 0x3f29c268, v95
	v_mul_f32_e32 v63, 0xbf7e222b, v107
	s_delay_alu instid0(VALU_DEP_4) | instskip(NEXT) | instid1(VALU_DEP_4)
	v_dual_fmac_f32 v95, 0xbf29c268, v18 :: v_dual_add_f32 v26, v26, v28
	v_add_f32_e32 v28, v29, v32
	v_mul_f32_e32 v62, 0xbeedf032, v99
	v_mul_f32_e32 v56, 0xbe750f2a, v115
	s_delay_alu instid0(VALU_DEP_3) | instskip(NEXT) | instid1(VALU_DEP_3)
	v_dual_add_f32 v28, v31, v28 :: v_dual_add_f32 v31, v9, v90
	v_dual_fmamk_f32 v58, v19, 0x3f62ad3f, v62 :: v_dual_add_f32 v33, v34, v33
	v_fmac_f32_e32 v164, 0xbeedf032, v10
	s_delay_alu instid0(VALU_DEP_3) | instskip(NEXT) | instid1(VALU_DEP_3)
	v_dual_add_f32 v24, v24, v28 :: v_dual_add_f32 v31, v57, v31
	v_add_f32_e32 v34, v8, v58
	v_fmamk_f32 v58, v7, 0x3f116cb1, v59
	v_fmamk_f32 v32, v14, 0xbf788fa5, v56
	s_delay_alu instid0(VALU_DEP_4) | instskip(SKIP_1) | instid1(VALU_DEP_4)
	v_add_f32_e32 v28, v25, v24
	v_dual_add_f32 v24, v30, v31 :: v_dual_add_f32 v31, v9, v113
	v_add_f32_e32 v34, v58, v34
	v_fma_f32 v30, 0xbf3f9e67, v12, -v108
	v_fmamk_f32 v58, v12, 0x3df6dbef, v63
	s_delay_alu instid0(VALU_DEP_4) | instskip(SKIP_1) | instid1(VALU_DEP_2)
	v_dual_add_f32 v24, v87, v24 :: v_dual_add_f32 v31, v116, v31
	v_fma_f32 v57, 0x3df6dbef, v13, -v137
	v_add_f32_e32 v24, v60, v24
	v_fmamk_f32 v66, v6, 0x3e750f2a, v64
	s_delay_alu instid0(VALU_DEP_4)
	v_add_f32_e32 v31, v118, v31
	v_add_f32_e32 v34, v58, v34
	v_fmamk_f32 v58, v13, 0xbeb58ec6, v65
	v_fma_f32 v60, 0xbf788fa5, v7, -v145
	v_add_f32_e32 v27, v66, v33
	v_add_f32_e32 v31, v120, v31
	v_fma_f32 v66, 0xbeb58ec6, v7, -v159
	v_dual_add_f32 v33, v58, v34 :: v_dual_fmamk_f32 v34, v15, 0xbf3f9e67, v67
	s_delay_alu instid0(VALU_DEP_1) | instskip(SKIP_3) | instid1(VALU_DEP_4)
	v_dual_fmac_f32 v64, 0xbe750f2a, v6 :: v_dual_add_f32 v29, v34, v33
	v_add_f32_e32 v33, v89, v26
	v_fma_f32 v34, 0x3df6dbef, v7, -v121
	v_fmac_f32_e32 v88, 0xbf6f5d39, v17
	v_add_f32_e32 v26, v32, v29
	v_fma_f32 v32, 0xbf788fa5, v19, -v101
	v_add_f32_e32 v29, v35, v33
	v_fma_f32 v33, 0x3f62ad3f, v7, -v106
	v_fma_f32 v35, 0xbf3f9e67, v7, -v133
	;; [unrolled: 1-line block ×3, first 2 shown]
	v_add_f32_e32 v32, v8, v32
	s_delay_alu instid0(VALU_DEP_1) | instskip(SKIP_1) | instid1(VALU_DEP_2)
	v_add_f32_e32 v25, v33, v32
	v_fma_f32 v32, 0xbeb58ec6, v15, -v114
	v_add_f32_e32 v25, v30, v25
	v_fma_f32 v30, 0x3f116cb1, v13, -v111
	s_delay_alu instid0(VALU_DEP_1) | instskip(SKIP_1) | instid1(VALU_DEP_2)
	v_dual_add_f32 v30, v30, v25 :: v_dual_add_f32 v25, v109, v24
	v_fma_f32 v24, 0xbf3f9e67, v19, -v119
	v_add_f32_e32 v30, v32, v30
	v_fma_f32 v32, 0x3df6dbef, v14, -v117
	s_delay_alu instid0(VALU_DEP_3) | instskip(NEXT) | instid1(VALU_DEP_2)
	v_add_f32_e32 v33, v8, v24
	v_add_f32_e32 v24, v32, v30
	;; [unrolled: 1-line block ×3, first 2 shown]
	s_delay_alu instid0(VALU_DEP_3) | instskip(SKIP_2) | instid1(VALU_DEP_4)
	v_add_f32_e32 v32, v34, v33
	v_fma_f32 v33, 0x3f116cb1, v12, -v123
	v_add_f32_e32 v34, v9, v126
	v_add_f32_e32 v31, v124, v30
	v_fma_f32 v30, 0xbeb58ec6, v19, -v131
	s_delay_alu instid0(VALU_DEP_4) | instskip(SKIP_2) | instid1(VALU_DEP_4)
	v_add_f32_e32 v32, v33, v32
	v_fma_f32 v33, 0xbf788fa5, v13, -v125
	v_add_f32_e32 v34, v128, v34
	v_add_f32_e32 v30, v8, v30
	s_delay_alu instid0(VALU_DEP_3) | instskip(SKIP_1) | instid1(VALU_DEP_4)
	v_add_f32_e32 v32, v33, v32
	v_fma_f32 v33, 0x3f62ad3f, v15, -v127
	v_add_f32_e32 v34, v130, v34
	s_delay_alu instid0(VALU_DEP_4) | instskip(SKIP_1) | instid1(VALU_DEP_4)
	v_add_f32_e32 v30, v35, v30
	v_fma_f32 v35, 0x3f62ad3f, v12, -v135
	v_add_f32_e32 v32, v33, v32
	v_fma_f32 v33, 0xbeb58ec6, v14, -v129
	v_add_f32_e32 v34, v132, v34
	s_delay_alu instid0(VALU_DEP_2) | instskip(NEXT) | instid1(VALU_DEP_2)
	v_dual_add_f32 v35, v35, v30 :: v_dual_add_f32 v30, v33, v32
	v_add_f32_e32 v32, v134, v34
	s_delay_alu instid0(VALU_DEP_2) | instskip(SKIP_2) | instid1(VALU_DEP_4)
	v_add_f32_e32 v34, v57, v35
	v_fma_f32 v35, 0xbf788fa5, v15, -v139
	v_add_f32_e32 v57, v9, v138
	v_add_f32_e32 v33, v136, v32
	v_fma_f32 v32, 0x3df6dbef, v19, -v143
	s_delay_alu instid0(VALU_DEP_4) | instskip(SKIP_2) | instid1(VALU_DEP_4)
	v_add_f32_e32 v34, v35, v34
	v_fma_f32 v35, 0x3f116cb1, v14, -v141
	v_add_f32_e32 v57, v140, v57
	v_add_f32_e32 v58, v8, v32
	s_delay_alu instid0(VALU_DEP_3) | instskip(NEXT) | instid1(VALU_DEP_3)
	v_add_f32_e32 v32, v35, v34
	v_add_f32_e32 v34, v142, v57
	v_fma_f32 v57, 0xbeb58ec6, v12, -v147
	s_delay_alu instid0(VALU_DEP_4) | instskip(SKIP_3) | instid1(VALU_DEP_4)
	v_add_f32_e32 v35, v60, v58
	v_add_f32_e32 v58, v9, v150
	v_fma_f32 v60, 0x3f116cb1, v15, -v152
	v_dual_add_f32 v34, v144, v34 :: v_dual_add_f32 v9, v9, v164
	v_add_f32_e32 v35, v57, v35
	v_fma_f32 v57, 0x3f62ad3f, v13, -v149
	v_add_f32_e32 v58, v153, v58
	s_delay_alu instid0(VALU_DEP_4) | instskip(NEXT) | instid1(VALU_DEP_2)
	v_dual_add_f32 v34, v146, v34 :: v_dual_add_f32 v9, v165, v9
	v_dual_add_f32 v57, v57, v35 :: v_dual_add_f32 v58, v155, v58
	s_delay_alu instid0(VALU_DEP_2) | instskip(SKIP_2) | instid1(VALU_DEP_4)
	v_add_f32_e32 v35, v148, v34
	v_fma_f32 v34, 0x3f116cb1, v19, -v156
	v_fma_f32 v19, 0x3f62ad3f, v19, -v62
	v_add_f32_e32 v57, v60, v57
	v_fma_f32 v60, 0xbf3f9e67, v14, -v151
	v_add_f32_e32 v58, v158, v58
	v_add_f32_e32 v61, v8, v34
	;; [unrolled: 1-line block ×3, first 2 shown]
	v_fma_f32 v19, 0xbf3f9e67, v13, -v163
	v_add_f32_e32 v34, v60, v57
	s_delay_alu instid0(VALU_DEP_4)
	v_dual_add_f32 v10, v157, v58 :: v_dual_add_f32 v57, v66, v61
	v_fma_f32 v58, 0xbf788fa5, v12, -v161
	v_add_f32_e32 v7, v7, v8
	v_fma_f32 v8, 0x3df6dbef, v12, -v63
	v_add_f32_e32 v9, v96, v9
	;; [unrolled: 2-line block ×3, first 2 shown]
	s_delay_alu instid0(VALU_DEP_4) | instskip(SKIP_2) | instid1(VALU_DEP_4)
	v_add_f32_e32 v7, v8, v7
	v_fma_f32 v8, 0xbeb58ec6, v13, -v65
	v_add_f32_e32 v9, v88, v9
	v_add_f32_e32 v11, v19, v11
	v_mul_u32_u24_e32 v13, 0x75, v94
	s_delay_alu instid0(VALU_DEP_4) | instskip(SKIP_1) | instid1(VALU_DEP_4)
	v_add_f32_e32 v7, v8, v7
	v_fma_f32 v8, 0xbf3f9e67, v15, -v67
	v_add_f32_e32 v11, v12, v11
	v_fma_f32 v12, 0x3f62ad3f, v14, -v166
	;; [unrolled: 2-line block ×3, first 2 shown]
	v_add_f32_e32 v8, v8, v7
	v_add_lshl_u32 v13, v13, v93, 3
	v_add_f32_e32 v7, v162, v10
	v_add_f32_e32 v9, v64, v9
	;; [unrolled: 1-line block ×4, first 2 shown]
	ds_store_2addr_b64 v13, v[28:29], v[26:27] offset1:9
	ds_store_2addr_b64 v13, v[22:23], v[20:21] offset0:18 offset1:27
	ds_store_2addr_b64 v13, v[4:5], v[2:3] offset0:36 offset1:45
	;; [unrolled: 1-line block ×5, first 2 shown]
	ds_store_b64 v13, v[8:9] offset:864
.LBB0_9:
	s_wait_alu 0xfffe
	s_or_b32 exec_lo, exec_lo, s2
	global_wb scope:SCOPE_SE
	s_wait_dscnt 0x0
	s_barrier_signal -1
	s_barrier_wait -1
	global_inv scope:SCOPE_SE
	ds_load_b64 v[16:17], v92 offset:7488
	v_add_nc_u32_e32 v18, 0x400, v92
	v_add_nc_u32_e32 v19, 0x1400, v92
	;; [unrolled: 1-line block ×3, first 2 shown]
	s_mov_b32 s2, 0xad57473c
	s_mov_b32 s3, 0x3f4f1e63
	s_wait_dscnt 0x0
	v_mul_f32_e32 v20, v43, v17
	ds_load_2addr_b64 v[0:3], v18 offset0:106 offset1:223
	ds_load_2addr_b64 v[4:7], v19 offset0:62 offset1:179
	;; [unrolled: 1-line block ×3, first 2 shown]
	ds_load_2addr_b64 v[12:15], v92 offset1:117
	v_mul_f32_e32 v21, v43, v16
	global_wb scope:SCOPE_SE
	s_wait_dscnt 0x0
	s_barrier_signal -1
	s_barrier_wait -1
	global_inv scope:SCOPE_SE
	v_mul_f32_e32 v24, v37, v2
	v_mul_f32_e32 v23, v37, v3
	;; [unrolled: 1-line block ×3, first 2 shown]
	v_dual_mul_f32 v26, v39, v4 :: v_dual_mul_f32 v27, v37, v9
	v_dual_mul_f32 v28, v37, v8 :: v_dual_mul_f32 v29, v39, v7
	;; [unrolled: 1-line block ×3, first 2 shown]
	s_delay_alu instid0(VALU_DEP_4) | instskip(SKIP_4) | instid1(VALU_DEP_4)
	v_dual_mul_f32 v32, v41, v10 :: v_dual_fmac_f32 v25, v38, v4
	v_dual_fmac_f32 v20, v42, v16 :: v_dual_fmac_f32 v23, v36, v2
	v_fma_f32 v3, v36, v3, -v24
	v_fma_f32 v5, v38, v5, -v26
	v_fmac_f32_e32 v27, v36, v8
	v_dual_fmac_f32 v29, v38, v6 :: v_dual_add_f32 v4, v12, v23
	s_delay_alu instid0(VALU_DEP_3) | instskip(SKIP_4) | instid1(VALU_DEP_4)
	v_dual_fmac_f32 v31, v40, v10 :: v_dual_add_f32 v6, v3, v5
	v_add_f32_e32 v2, v23, v25
	v_fma_f32 v9, v36, v9, -v28
	v_fma_f32 v16, v38, v7, -v30
	v_dual_sub_f32 v7, v3, v5 :: v_dual_add_f32 v8, v13, v3
	v_fma_f32 v2, -0.5, v2, v12
	v_sub_f32_e32 v10, v23, v25
	v_fma_f32 v3, -0.5, v6, v13
	v_fma_f32 v17, v42, v17, -v21
	v_fma_f32 v21, v40, v11, -v32
	v_dual_add_f32 v11, v14, v27 :: v_dual_add_f32 v4, v4, v25
	v_dual_fmamk_f32 v6, v7, 0xbf5db3d7, v2 :: v_dual_add_f32 v5, v8, v5
	v_fmac_f32_e32 v2, 0x3f5db3d7, v7
	v_dual_add_f32 v8, v27, v29 :: v_dual_fmamk_f32 v7, v10, 0x3f5db3d7, v3
	v_dual_fmac_f32 v3, 0xbf5db3d7, v10 :: v_dual_add_f32 v10, v9, v16
	v_sub_f32_e32 v13, v27, v29
	s_delay_alu instid0(VALU_DEP_3) | instskip(SKIP_1) | instid1(VALU_DEP_4)
	v_fma_f32 v14, -0.5, v8, v14
	v_dual_sub_f32 v12, v9, v16 :: v_dual_add_f32 v9, v15, v9
	v_dual_fmac_f32 v15, -0.5, v10 :: v_dual_add_f32 v8, v11, v29
	s_delay_alu instid0(VALU_DEP_2) | instskip(NEXT) | instid1(VALU_DEP_2)
	v_dual_sub_f32 v23, v21, v17 :: v_dual_fmamk_f32 v10, v12, 0xbf5db3d7, v14
	v_dual_fmac_f32 v14, 0x3f5db3d7, v12 :: v_dual_fmamk_f32 v11, v13, 0x3f5db3d7, v15
	v_dual_add_f32 v12, v31, v20 :: v_dual_fmac_f32 v15, 0xbf5db3d7, v13
	v_add_f32_e32 v13, v21, v17
	v_dual_add_f32 v9, v9, v16 :: v_dual_add_f32 v16, v0, v31
	s_delay_alu instid0(VALU_DEP_3) | instskip(SKIP_1) | instid1(VALU_DEP_3)
	v_fma_f32 v0, -0.5, v12, v0
	v_dual_add_f32 v21, v1, v21 :: v_dual_sub_f32 v24, v31, v20
	v_dual_fmac_f32 v1, -0.5, v13 :: v_dual_add_f32 v12, v16, v20
	s_delay_alu instid0(VALU_DEP_2) | instskip(NEXT) | instid1(VALU_DEP_2)
	v_dual_fmamk_f32 v16, v23, 0xbf5db3d7, v0 :: v_dual_add_f32 v13, v21, v17
	v_dual_fmac_f32 v0, 0x3f5db3d7, v23 :: v_dual_fmamk_f32 v17, v24, 0x3f5db3d7, v1
	v_add_nc_u32_e32 v20, 0x1400, v98
	v_fmac_f32_e32 v1, 0xbf5db3d7, v24
	ds_store_2addr_b64 v92, v[4:5], v[6:7] offset1:117
	ds_store_2addr_b64 v18, v[2:3], v[8:9] offset0:106 offset1:223
	ds_store_2addr_b64 v22, v[10:11], v[14:15] offset0:84 offset1:201
	;; [unrolled: 1-line block ×3, first 2 shown]
	ds_store_b64 v98, v[0:1] offset:7488
	global_wb scope:SCOPE_SE
	s_wait_dscnt 0x0
	s_barrier_signal -1
	s_barrier_wait -1
	global_inv scope:SCOPE_SE
	ds_load_2addr_b64 v[0:3], v18 offset0:106 offset1:223
	ds_load_2addr_b64 v[4:7], v19 offset0:62 offset1:179
	;; [unrolled: 1-line block ×3, first 2 shown]
	ds_load_b64 v[16:17], v92 offset:7488
	ds_load_2addr_b64 v[12:15], v92 offset1:117
	s_wait_dscnt 0x4
	v_mul_f32_e32 v20, v53, v3
	v_mul_f32_e32 v21, v53, v2
	s_wait_dscnt 0x3
	v_mul_f32_e32 v23, v55, v5
	v_mul_f32_e32 v24, v51, v7
	s_wait_dscnt 0x2
	v_dual_mul_f32 v25, v45, v11 :: v_dual_fmac_f32 v20, v52, v2
	v_mul_f32_e32 v2, v55, v4
	v_fma_f32 v3, v52, v3, -v21
	v_mul_f32_e32 v21, v49, v9
	v_fmac_f32_e32 v23, v54, v4
	s_wait_dscnt 0x1
	v_dual_mul_f32 v4, v49, v8 :: v_dual_mul_f32 v27, v47, v17
	v_fma_f32 v5, v54, v5, -v2
	v_dual_fmac_f32 v21, v48, v8 :: v_dual_mul_f32 v2, v51, v6
	s_delay_alu instid0(VALU_DEP_3) | instskip(NEXT) | instid1(VALU_DEP_4)
	v_fma_f32 v9, v48, v9, -v4
	v_dual_mul_f32 v4, v45, v10 :: v_dual_fmac_f32 v27, v46, v16
	v_fmac_f32_e32 v24, v50, v6
	s_delay_alu instid0(VALU_DEP_4) | instskip(SKIP_1) | instid1(VALU_DEP_4)
	v_fma_f32 v26, v50, v7, -v2
	v_dual_fmac_f32 v25, v44, v10 :: v_dual_mul_f32 v2, v47, v16
	v_fma_f32 v28, v44, v11, -v4
	v_dual_add_f32 v4, v20, v23 :: v_dual_add_f32 v7, v3, v5
	v_dual_sub_f32 v8, v3, v5 :: v_dual_sub_f32 v11, v20, v23
	s_delay_alu instid0(VALU_DEP_4) | instskip(SKIP_1) | instid1(VALU_DEP_3)
	v_fma_f32 v17, v46, v17, -v2
	s_wait_dscnt 0x0
	v_fma_f32 v2, -0.5, v4, v12
	v_add_f32_e32 v10, v13, v3
	v_add_f32_e32 v6, v12, v20
	v_fma_f32 v3, -0.5, v7, v13
	v_sub_f32_e32 v13, v21, v24
	s_delay_alu instid0(VALU_DEP_4) | instskip(NEXT) | instid1(VALU_DEP_3)
	v_dual_sub_f32 v12, v9, v26 :: v_dual_add_f32 v5, v10, v5
	v_dual_add_f32 v4, v6, v23 :: v_dual_fmamk_f32 v7, v11, 0x3f5db3d7, v3
	v_dual_fmamk_f32 v6, v8, 0xbf5db3d7, v2 :: v_dual_fmac_f32 v3, 0xbf5db3d7, v11
	v_dual_fmac_f32 v2, 0x3f5db3d7, v8 :: v_dual_add_f32 v11, v9, v26
	v_add_f32_e32 v8, v21, v24
	v_add_f32_e32 v10, v14, v21
	;; [unrolled: 1-line block ×3, first 2 shown]
	s_delay_alu instid0(VALU_DEP_4) | instskip(NEXT) | instid1(VALU_DEP_4)
	v_dual_add_f32 v16, v0, v25 :: v_dual_fmac_f32 v15, -0.5, v11
	v_fma_f32 v14, -0.5, v8, v14
	s_delay_alu instid0(VALU_DEP_3) | instskip(SKIP_1) | instid1(VALU_DEP_4)
	v_dual_add_f32 v8, v10, v24 :: v_dual_add_f32 v9, v9, v26
	v_add_f32_e32 v21, v1, v28
	v_fmamk_f32 v11, v13, 0x3f5db3d7, v15
	s_delay_alu instid0(VALU_DEP_4) | instskip(SKIP_3) | instid1(VALU_DEP_3)
	v_dual_fmac_f32 v15, 0xbf5db3d7, v13 :: v_dual_fmamk_f32 v10, v12, 0xbf5db3d7, v14
	v_dual_fmac_f32 v14, 0x3f5db3d7, v12 :: v_dual_add_f32 v13, v28, v17
	v_add_f32_e32 v12, v25, v27
	v_dual_sub_f32 v20, v28, v17 :: v_dual_sub_f32 v23, v25, v27
	v_fmac_f32_e32 v1, -0.5, v13
	s_delay_alu instid0(VALU_DEP_3) | instskip(SKIP_1) | instid1(VALU_DEP_3)
	v_fma_f32 v0, -0.5, v12, v0
	v_dual_add_f32 v12, v16, v27 :: v_dual_add_f32 v13, v21, v17
	v_fmamk_f32 v17, v23, 0x3f5db3d7, v1
	s_delay_alu instid0(VALU_DEP_3)
	v_dual_fmamk_f32 v16, v20, 0xbf5db3d7, v0 :: v_dual_fmac_f32 v1, 0xbf5db3d7, v23
	v_fmac_f32_e32 v0, 0x3f5db3d7, v20
	v_add_nc_u32_e32 v20, 0x1800, v92
	ds_store_b64 v92, v[6:7] offset:2808
	ds_store_b64 v92, v[2:3] offset:5616
	ds_store_2addr_b64 v92, v[4:5], v[8:9] offset1:117
	ds_store_b64 v92, v[12:13] offset:1872
	ds_store_2addr_b64 v22, v[10:11], v[16:17] offset0:84 offset1:201
	ds_store_2addr_b64 v20, v[14:15], v[0:1] offset0:51 offset1:168
	global_wb scope:SCOPE_SE
	s_wait_dscnt 0x0
	s_barrier_signal -1
	s_barrier_wait -1
	global_inv scope:SCOPE_SE
	ds_load_2addr_b64 v[0:3], v92 offset1:117
	ds_load_2addr_b64 v[4:7], v18 offset0:106 offset1:223
	ds_load_2addr_b64 v[8:11], v19 offset0:62 offset1:179
	v_mad_co_u64_u32 v[16:17], null, s6, v68, 0
	ds_load_b64 v[28:29], v92 offset:7488
	s_wait_dscnt 0x2
	v_dual_mul_f32 v13, v86, v0 :: v_dual_mul_f32 v24, v80, v7
	s_wait_dscnt 0x1
	v_dual_mul_f32 v12, v86, v1 :: v_dual_mul_f32 v33, v72, v10
	;; [unrolled: 2-line block ×3, first 2 shown]
	v_fma_f32 v1, v85, v1, -v13
	v_mul_f32_e32 v38, v78, v29
	s_delay_alu instid0(VALU_DEP_3) | instskip(NEXT) | instid1(VALU_DEP_3)
	v_fma_f32 v40, v77, v29, -v39
	v_cvt_f64_f32_e32 v[20:21], v1
	s_delay_alu instid0(VALU_DEP_3) | instskip(NEXT) | instid1(VALU_DEP_3)
	v_dual_mul_f32 v1, v80, v6 :: v_dual_fmac_f32 v38, v77, v28
	v_cvt_f64_f32_e32 v[40:41], v40
	s_delay_alu instid0(VALU_DEP_2) | instskip(SKIP_3) | instid1(VALU_DEP_3)
	v_fma_f32 v1, v79, v7, -v1
	v_dual_mul_f32 v7, v84, v2 :: v_dual_fmac_f32 v12, v85, v0
	v_dual_mov_b32 v0, v17 :: v_dual_mul_f32 v17, v82, v8
	v_cvt_f64_f32_e32 v[38:39], v38
	v_cvt_f64_f32_e32 v[18:19], v12
	ds_load_2addr_b64 v[12:15], v22 offset0:84 offset1:201
	v_mul_f32_e32 v26, v84, v3
	v_fma_f32 v3, v83, v3, -v7
	v_fmac_f32_e32 v24, v79, v6
	v_mul_f32_e32 v6, v82, v9
	v_mad_co_u64_u32 v[22:23], null, s4, v91, 0
	s_delay_alu instid0(VALU_DEP_4) | instskip(NEXT) | instid1(VALU_DEP_3)
	v_cvt_f64_f32_e32 v[30:31], v3
	v_fmac_f32_e32 v6, v81, v8
	v_fma_f32 v8, v81, v9, -v17
	s_delay_alu instid0(VALU_DEP_1)
	v_cvt_f64_f32_e32 v[8:9], v8
	s_wait_dscnt 0x0
	v_mul_f32_e32 v3, v74, v13
	v_mul_f32_e32 v17, v74, v12
	v_cvt_f64_f32_e32 v[24:25], v24
	s_wait_alu 0xfffe
	v_mul_f64_e32 v[20:21], s[2:3], v[20:21]
	v_dual_fmac_f32 v3, v73, v12 :: v_dual_fmac_f32 v26, v83, v2
	v_cvt_f64_f32_e32 v[1:2], v1
	v_fma_f32 v12, v73, v13, -v17
	v_fma_f32 v17, v71, v11, -v33
	s_delay_alu instid0(VALU_DEP_2) | instskip(NEXT) | instid1(VALU_DEP_2)
	v_cvt_f64_f32_e32 v[12:13], v12
	v_cvt_f64_f32_e32 v[34:35], v17
	v_dual_mul_f32 v17, v76, v15 :: v_dual_mul_f32 v36, v70, v5
	v_cvt_f64_f32_e32 v[6:7], v6
	v_mul_f64_e32 v[18:19], s[2:3], v[18:19]
	s_delay_alu instid0(VALU_DEP_3)
	v_fmac_f32_e32 v17, v75, v14
	v_mul_f64_e32 v[24:25], s[2:3], v[24:25]
	v_mad_co_u64_u32 v[42:43], null, s7, v68, v[0:1]
	v_mov_b32_e32 v0, v23
	v_fmac_f32_e32 v32, v71, v10
	v_cvt_f64_f32_e32 v[10:11], v3
	v_mul_f32_e32 v3, v70, v4
	v_cvt_f64_f32_e32 v[26:27], v26
	v_mad_co_u64_u32 v[43:44], null, s5, v91, v[0:1]
	v_fmac_f32_e32 v36, v69, v4
	v_mul_f32_e32 v4, v76, v14
	v_fma_f32 v3, v69, v5, -v3
	v_mul_f64_e32 v[0:1], s[2:3], v[1:2]
	v_cvt_f32_f64_e32 v18, v[18:19]
	v_cvt_f32_f64_e32 v19, v[20:21]
	v_fma_f32 v5, v75, v15, -v4
	v_cvt_f64_f32_e32 v[14:15], v17
	v_mov_b32_e32 v17, v42
	v_cvt_f64_f32_e32 v[32:33], v32
	v_cvt_f64_f32_e32 v[3:4], v3
	v_mov_b32_e32 v23, v43
	v_cvt_f64_f32_e32 v[36:37], v36
	v_cvt_f64_f32_e32 v[28:29], v5
	v_lshlrev_b64_e32 v[16:17], 3, v[16:17]
	v_mul_f64_e32 v[5:6], s[2:3], v[6:7]
	v_mul_f64_e32 v[7:8], s[2:3], v[8:9]
	v_lshlrev_b64_e32 v[22:23], 3, v[22:23]
	s_delay_alu instid0(VALU_DEP_4) | instskip(SKIP_3) | instid1(VALU_DEP_3)
	v_add_co_u32 v42, vcc_lo, s0, v16
	s_wait_alu 0xfffd
	v_add_co_ci_u32_e32 v43, vcc_lo, s1, v17, vcc_lo
	v_mul_f64_e32 v[16:17], s[2:3], v[30:31]
	v_add_co_u32 v22, vcc_lo, v42, v22
	s_wait_alu 0xfffd
	s_delay_alu instid0(VALU_DEP_3)
	v_add_co_ci_u32_e32 v23, vcc_lo, v43, v23, vcc_lo
	s_mul_u64 s[0:1], s[4:5], 0xaf8
	v_cvt_f32_f64_e32 v20, v[24:25]
	v_mul_f64_e32 v[9:10], s[2:3], v[10:11]
	v_mul_f64_e32 v[11:12], s[2:3], v[12:13]
	;; [unrolled: 1-line block ×3, first 2 shown]
	v_cvt_f32_f64_e32 v21, v[0:1]
	v_mul_f64_e32 v[13:14], s[2:3], v[14:15]
	v_mul_f64_e32 v[30:31], s[2:3], v[32:33]
	;; [unrolled: 1-line block ×8, first 2 shown]
	s_wait_alu 0xfffe
	v_add_co_u32 v40, vcc_lo, v22, s0
	s_wait_alu 0xfffd
	v_add_co_ci_u32_e32 v41, vcc_lo, s1, v23, vcc_lo
	v_cvt_f32_f64_e32 v0, v[5:6]
	s_delay_alu instid0(VALU_DEP_3) | instskip(SKIP_1) | instid1(VALU_DEP_3)
	v_add_co_u32 v42, vcc_lo, v40, s0
	s_wait_alu 0xfffd
	v_add_co_ci_u32_e32 v43, vcc_lo, s1, v41, vcc_lo
	v_cvt_f32_f64_e32 v1, v[7:8]
	v_cvt_f32_f64_e32 v5, v[16:17]
	s_mul_i32 s2, s5, 0xffffedb8
	s_delay_alu instid0(VALU_DEP_3)
	v_mad_co_u64_u32 v[24:25], null, 0xffffedb8, s4, v[42:43]
	s_wait_alu 0xfffe
	s_sub_co_i32 s2, s2, s4
	s_clause 0x1
	global_store_b64 v[22:23], v[18:19], off
	global_store_b64 v[40:41], v[20:21], off
	s_wait_alu 0xfffe
	v_add_nc_u32_e32 v25, s2, v25
	v_cvt_f32_f64_e32 v4, v[26:27]
	v_cvt_f32_f64_e32 v6, v[9:10]
	;; [unrolled: 1-line block ×11, first 2 shown]
	v_add_co_u32 v14, vcc_lo, v24, s0
	s_wait_alu 0xfffd
	v_add_co_ci_u32_e32 v15, vcc_lo, s1, v25, vcc_lo
	s_delay_alu instid0(VALU_DEP_2) | instskip(SKIP_1) | instid1(VALU_DEP_2)
	v_add_co_u32 v16, vcc_lo, v14, s0
	s_wait_alu 0xfffd
	v_add_co_ci_u32_e32 v17, vcc_lo, s1, v15, vcc_lo
	global_store_b64 v[42:43], v[0:1], off
	v_mad_co_u64_u32 v[26:27], null, 0xffffedb8, s4, v[16:17]
	s_delay_alu instid0(VALU_DEP_1) | instskip(NEXT) | instid1(VALU_DEP_2)
	v_add_nc_u32_e32 v27, s2, v27
	v_add_co_u32 v0, vcc_lo, v26, s0
	s_wait_alu 0xfffd
	s_delay_alu instid0(VALU_DEP_2)
	v_add_co_ci_u32_e32 v1, vcc_lo, s1, v27, vcc_lo
	global_store_b64 v[24:25], v[4:5], off
	v_add_co_u32 v4, vcc_lo, v0, s0
	s_wait_alu 0xfffd
	v_add_co_ci_u32_e32 v5, vcc_lo, s1, v1, vcc_lo
	global_store_b64 v[14:15], v[6:7], off
	global_store_b64 v[16:17], v[8:9], off
	global_store_b64 v[26:27], v[10:11], off
	global_store_b64 v[0:1], v[2:3], off
	global_store_b64 v[4:5], v[12:13], off
.LBB0_10:
	s_nop 0
	s_sendmsg sendmsg(MSG_DEALLOC_VGPRS)
	s_endpgm
	.section	.rodata,"a",@progbits
	.p2align	6, 0x0
	.amdhsa_kernel bluestein_single_fwd_len1053_dim1_sp_op_CI_CI
		.amdhsa_group_segment_fixed_size 8424
		.amdhsa_private_segment_fixed_size 0
		.amdhsa_kernarg_size 104
		.amdhsa_user_sgpr_count 2
		.amdhsa_user_sgpr_dispatch_ptr 0
		.amdhsa_user_sgpr_queue_ptr 0
		.amdhsa_user_sgpr_kernarg_segment_ptr 1
		.amdhsa_user_sgpr_dispatch_id 0
		.amdhsa_user_sgpr_private_segment_size 0
		.amdhsa_wavefront_size32 1
		.amdhsa_uses_dynamic_stack 0
		.amdhsa_enable_private_segment 0
		.amdhsa_system_sgpr_workgroup_id_x 1
		.amdhsa_system_sgpr_workgroup_id_y 0
		.amdhsa_system_sgpr_workgroup_id_z 0
		.amdhsa_system_sgpr_workgroup_info 0
		.amdhsa_system_vgpr_workitem_id 0
		.amdhsa_next_free_vgpr 243
		.amdhsa_next_free_sgpr 16
		.amdhsa_reserve_vcc 1
		.amdhsa_float_round_mode_32 0
		.amdhsa_float_round_mode_16_64 0
		.amdhsa_float_denorm_mode_32 3
		.amdhsa_float_denorm_mode_16_64 3
		.amdhsa_fp16_overflow 0
		.amdhsa_workgroup_processor_mode 1
		.amdhsa_memory_ordered 1
		.amdhsa_forward_progress 0
		.amdhsa_round_robin_scheduling 0
		.amdhsa_exception_fp_ieee_invalid_op 0
		.amdhsa_exception_fp_denorm_src 0
		.amdhsa_exception_fp_ieee_div_zero 0
		.amdhsa_exception_fp_ieee_overflow 0
		.amdhsa_exception_fp_ieee_underflow 0
		.amdhsa_exception_fp_ieee_inexact 0
		.amdhsa_exception_int_div_zero 0
	.end_amdhsa_kernel
	.text
.Lfunc_end0:
	.size	bluestein_single_fwd_len1053_dim1_sp_op_CI_CI, .Lfunc_end0-bluestein_single_fwd_len1053_dim1_sp_op_CI_CI
                                        ; -- End function
	.section	.AMDGPU.csdata,"",@progbits
; Kernel info:
; codeLenInByte = 13792
; NumSgprs: 18
; NumVgprs: 243
; ScratchSize: 0
; MemoryBound: 0
; FloatMode: 240
; IeeeMode: 1
; LDSByteSize: 8424 bytes/workgroup (compile time only)
; SGPRBlocks: 2
; VGPRBlocks: 30
; NumSGPRsForWavesPerEU: 18
; NumVGPRsForWavesPerEU: 243
; Occupancy: 5
; WaveLimiterHint : 1
; COMPUTE_PGM_RSRC2:SCRATCH_EN: 0
; COMPUTE_PGM_RSRC2:USER_SGPR: 2
; COMPUTE_PGM_RSRC2:TRAP_HANDLER: 0
; COMPUTE_PGM_RSRC2:TGID_X_EN: 1
; COMPUTE_PGM_RSRC2:TGID_Y_EN: 0
; COMPUTE_PGM_RSRC2:TGID_Z_EN: 0
; COMPUTE_PGM_RSRC2:TIDIG_COMP_CNT: 0
	.text
	.p2alignl 7, 3214868480
	.fill 96, 4, 3214868480
	.type	__hip_cuid_b8ec11b88d8693be,@object ; @__hip_cuid_b8ec11b88d8693be
	.section	.bss,"aw",@nobits
	.globl	__hip_cuid_b8ec11b88d8693be
__hip_cuid_b8ec11b88d8693be:
	.byte	0                               ; 0x0
	.size	__hip_cuid_b8ec11b88d8693be, 1

	.ident	"AMD clang version 19.0.0git (https://github.com/RadeonOpenCompute/llvm-project roc-6.4.0 25133 c7fe45cf4b819c5991fe208aaa96edf142730f1d)"
	.section	".note.GNU-stack","",@progbits
	.addrsig
	.addrsig_sym __hip_cuid_b8ec11b88d8693be
	.amdgpu_metadata
---
amdhsa.kernels:
  - .args:
      - .actual_access:  read_only
        .address_space:  global
        .offset:         0
        .size:           8
        .value_kind:     global_buffer
      - .actual_access:  read_only
        .address_space:  global
        .offset:         8
        .size:           8
        .value_kind:     global_buffer
      - .actual_access:  read_only
        .address_space:  global
        .offset:         16
        .size:           8
        .value_kind:     global_buffer
      - .actual_access:  read_only
        .address_space:  global
        .offset:         24
        .size:           8
        .value_kind:     global_buffer
      - .actual_access:  read_only
        .address_space:  global
        .offset:         32
        .size:           8
        .value_kind:     global_buffer
      - .offset:         40
        .size:           8
        .value_kind:     by_value
      - .address_space:  global
        .offset:         48
        .size:           8
        .value_kind:     global_buffer
      - .address_space:  global
        .offset:         56
        .size:           8
        .value_kind:     global_buffer
      - .address_space:  global
        .offset:         64
        .size:           8
        .value_kind:     global_buffer
      - .address_space:  global
        .offset:         72
        .size:           8
        .value_kind:     global_buffer
      - .offset:         80
        .size:           4
        .value_kind:     by_value
      - .address_space:  global
        .offset:         88
        .size:           8
        .value_kind:     global_buffer
      - .address_space:  global
        .offset:         96
        .size:           8
        .value_kind:     global_buffer
    .group_segment_fixed_size: 8424
    .kernarg_segment_align: 8
    .kernarg_segment_size: 104
    .language:       OpenCL C
    .language_version:
      - 2
      - 0
    .max_flat_workgroup_size: 117
    .name:           bluestein_single_fwd_len1053_dim1_sp_op_CI_CI
    .private_segment_fixed_size: 0
    .sgpr_count:     18
    .sgpr_spill_count: 0
    .symbol:         bluestein_single_fwd_len1053_dim1_sp_op_CI_CI.kd
    .uniform_work_group_size: 1
    .uses_dynamic_stack: false
    .vgpr_count:     243
    .vgpr_spill_count: 0
    .wavefront_size: 32
    .workgroup_processor_mode: 1
amdhsa.target:   amdgcn-amd-amdhsa--gfx1201
amdhsa.version:
  - 1
  - 2
...

	.end_amdgpu_metadata
